;; amdgpu-corpus repo=ROCm/rocFFT kind=compiled arch=gfx1201 opt=O3
	.text
	.amdgcn_target "amdgcn-amd-amdhsa--gfx1201"
	.amdhsa_code_object_version 6
	.protected	bluestein_single_back_len968_dim1_sp_op_CI_CI ; -- Begin function bluestein_single_back_len968_dim1_sp_op_CI_CI
	.globl	bluestein_single_back_len968_dim1_sp_op_CI_CI
	.p2align	8
	.type	bluestein_single_back_len968_dim1_sp_op_CI_CI,@function
bluestein_single_back_len968_dim1_sp_op_CI_CI: ; @bluestein_single_back_len968_dim1_sp_op_CI_CI
; %bb.0:
	s_load_b128 s[8:11], s[0:1], 0x28
	v_mul_u32_u24_e32 v1, 0x2e9, v0
	v_mov_b32_e32 v65, 0
	s_mov_b32 s2, exec_lo
	s_delay_alu instid0(VALU_DEP_2) | instskip(NEXT) | instid1(VALU_DEP_1)
	v_lshrrev_b32_e32 v2, 16, v1
	v_lshl_add_u32 v64, ttmp9, 1, v2
	s_wait_kmcnt 0x0
	s_delay_alu instid0(VALU_DEP_1)
	v_cmpx_gt_u64_e64 s[8:9], v[64:65]
	s_cbranch_execz .LBB0_31
; %bb.1:
	s_clause 0x1
	s_load_b128 s[4:7], s[0:1], 0x18
	s_load_b64 s[16:17], s[0:1], 0x0
	v_mul_lo_u16 v1, 0x58, v2
	s_movk_i32 s2, 0xfe74
	s_mov_b32 s3, -1
	s_delay_alu instid0(VALU_DEP_1) | instskip(NEXT) | instid1(VALU_DEP_1)
	v_sub_nc_u16 v29, v0, v1
	v_and_b32_e32 v91, 0xffff, v29
	s_wait_kmcnt 0x0
	s_load_b128 s[12:15], s[4:5], 0x0
	s_wait_kmcnt 0x0
	v_mad_co_u64_u32 v[0:1], null, s14, v64, 0
	v_mad_co_u64_u32 v[3:4], null, s12, v91, 0
	s_mul_u64 s[4:5], s[12:13], 0x1e4
	s_mul_u64 s[2:3], s[12:13], s[2:3]
	s_delay_alu instid0(SALU_CYCLE_1) | instskip(NEXT) | instid1(VALU_DEP_2)
	s_lshl_b64 s[2:3], s[2:3], 3
	v_mad_co_u64_u32 v[5:6], null, s15, v64, v[1:2]
	s_delay_alu instid0(VALU_DEP_1) | instskip(SKIP_1) | instid1(VALU_DEP_1)
	v_mad_co_u64_u32 v[6:7], null, s13, v91, v[4:5]
	v_mov_b32_e32 v1, v5
	v_lshlrev_b64_e32 v[0:1], 3, v[0:1]
	s_delay_alu instid0(VALU_DEP_3)
	v_mov_b32_e32 v4, v6
	v_lshlrev_b32_e32 v94, 3, v91
	s_clause 0x2
	global_load_b64 v[79:80], v94, s[16:17] offset:3872
	global_load_b64 v[69:70], v94, s[16:17] offset:4576
	;; [unrolled: 1-line block ×3, first 2 shown]
	v_lshlrev_b64_e32 v[3:4], 3, v[3:4]
	s_clause 0x4
	global_load_b64 v[85:86], v94, s[16:17]
	global_load_b64 v[77:78], v94, s[16:17] offset:704
	global_load_b64 v[75:76], v94, s[16:17] offset:1408
	;; [unrolled: 1-line block ×4, first 2 shown]
	v_add_co_u32 v65, s12, s16, v94
	v_add_co_u32 v0, vcc_lo, s10, v0
	v_add_co_ci_u32_e32 v1, vcc_lo, s11, v1, vcc_lo
	s_lshl_b64 s[10:11], s[4:5], 3
	s_delay_alu instid0(VALU_DEP_2) | instskip(SKIP_1) | instid1(VALU_DEP_2)
	v_add_co_u32 v0, vcc_lo, v0, v3
	s_wait_alu 0xfffd
	v_add_co_ci_u32_e32 v1, vcc_lo, v1, v4, vcc_lo
	s_wait_alu 0xf1ff
	v_add_co_ci_u32_e64 v66, null, s17, 0, s12
	s_wait_alu 0xfffe
	v_add_co_u32 v3, vcc_lo, v0, s10
	s_wait_alu 0xfffd
	v_add_co_ci_u32_e32 v4, vcc_lo, s11, v1, vcc_lo
	s_delay_alu instid0(VALU_DEP_2) | instskip(SKIP_1) | instid1(VALU_DEP_2)
	v_add_co_u32 v5, vcc_lo, v3, s2
	s_wait_alu 0xfffd
	v_add_co_ci_u32_e32 v6, vcc_lo, s3, v4, vcc_lo
	s_clause 0x2
	global_load_b64 v[7:8], v[3:4], off
	global_load_b64 v[11:12], v[5:6], off
	global_load_b64 v[9:10], v[0:1], off
	v_add_co_u32 v3, vcc_lo, v5, s10
	s_wait_alu 0xfffd
	v_add_co_ci_u32_e32 v4, vcc_lo, s11, v6, vcc_lo
	v_and_b32_e32 v2, 1, v2
	s_delay_alu instid0(VALU_DEP_3) | instskip(SKIP_1) | instid1(VALU_DEP_3)
	v_add_co_u32 v0, vcc_lo, v3, s2
	s_wait_alu 0xfffd
	v_add_co_ci_u32_e32 v1, vcc_lo, s3, v4, vcc_lo
	s_clause 0x1
	global_load_b64 v[13:14], v[3:4], off
	global_load_b64 v[15:16], v[0:1], off
	v_add_co_u32 v5, vcc_lo, v0, s10
	s_wait_alu 0xfffd
	v_add_co_ci_u32_e32 v6, vcc_lo, s11, v1, vcc_lo
	s_delay_alu instid0(VALU_DEP_2) | instskip(SKIP_1) | instid1(VALU_DEP_2)
	v_add_co_u32 v0, vcc_lo, v5, s2
	s_wait_alu 0xfffd
	v_add_co_ci_u32_e32 v1, vcc_lo, s3, v6, vcc_lo
	global_load_b64 v[17:18], v[5:6], off
	v_add_co_u32 v3, vcc_lo, v0, s10
	s_wait_alu 0xfffd
	v_add_co_ci_u32_e32 v4, vcc_lo, s11, v1, vcc_lo
	global_load_b64 v[19:20], v[0:1], off
	v_add_co_u32 v5, vcc_lo, v3, s2
	global_load_b64 v[21:22], v[3:4], off
	s_wait_alu 0xfffd
	v_add_co_ci_u32_e32 v6, vcc_lo, s3, v4, vcc_lo
	v_add_co_u32 v0, vcc_lo, v5, s10
	s_wait_alu 0xfffd
	s_delay_alu instid0(VALU_DEP_2)
	v_add_co_ci_u32_e32 v1, vcc_lo, s11, v6, vcc_lo
	global_load_b64 v[81:82], v94, s[16:17] offset:2816
	global_load_b64 v[23:24], v[5:6], off
	global_load_b64 v[83:84], v94, s[16:17] offset:6688
	global_load_b64 v[25:26], v[0:1], off
	s_load_b64 s[8:9], s[0:1], 0x38
	s_load_b128 s[4:7], s[6:7], 0x0
	s_wait_loadcnt 0xb
	v_mul_f32_e32 v3, v7, v80
	v_cmp_eq_u32_e32 vcc_lo, 1, v2
	v_mul_f32_e32 v2, v8, v80
	s_wait_loadcnt 0xa
	v_mul_f32_e32 v27, v12, v78
	s_wait_loadcnt 0x9
	v_mul_f32_e32 v28, v9, v86
	v_mul_f32_e32 v30, v11, v78
	s_wait_alu 0xfffd
	v_cndmask_b32_e64 v93, 0, 0x1e40, vcc_lo
	v_fmac_f32_e32 v2, v7, v79
	v_fma_f32 v3, v8, v79, -v3
	v_fmac_f32_e32 v27, v11, v77
	v_fma_f32 v7, v10, v85, -v28
	v_add_nc_u32_e32 v92, v93, v94
	v_mul_f32_e32 v6, v10, v86
	v_fma_f32 v28, v12, v77, -v30
	v_cmp_gt_u16_e32 vcc_lo, 44, v29
	s_delay_alu instid0(VALU_DEP_3)
	v_dual_fmac_f32 v6, v9, v85 :: v_dual_add_nc_u32 v5, 0x1000, v92
	ds_store_b64 v92, v[2:3] offset:3872
	s_wait_loadcnt 0x8
	v_mul_f32_e32 v2, v14, v70
	s_wait_loadcnt 0x7
	v_dual_mul_f32 v3, v13, v70 :: v_dual_mul_f32 v8, v16, v76
	v_add_nc_u32_e32 v4, 0x400, v92
	s_delay_alu instid0(VALU_DEP_3) | instskip(NEXT) | instid1(VALU_DEP_3)
	v_fmac_f32_e32 v2, v13, v69
	v_fma_f32 v3, v14, v69, -v3
	s_delay_alu instid0(VALU_DEP_4)
	v_fmac_f32_e32 v8, v15, v75
	s_wait_loadcnt 0x5
	v_mul_f32_e32 v10, v20, v74
	v_mul_f32_e32 v11, v19, v74
	s_wait_loadcnt 0x4
	v_mul_f32_e32 v13, v22, v68
	ds_store_2addr_b64 v92, v[6:7], v[27:28] offset1:88
	v_mul_f32_e32 v7, v15, v76
	v_mul_f32_e32 v6, v18, v72
	v_mul_f32_e32 v12, v21, v68
	s_wait_loadcnt 0x2
	v_dual_fmac_f32 v10, v19, v73 :: v_dual_mul_f32 v15, v24, v82
	v_fma_f32 v9, v16, v75, -v7
	v_dual_mul_f32 v7, v17, v72 :: v_dual_mul_f32 v16, v23, v82
	s_wait_loadcnt 0x0
	v_dual_fmac_f32 v6, v17, v71 :: v_dual_mul_f32 v17, v26, v84
	v_fma_f32 v14, v22, v67, -v12
	s_delay_alu instid0(VALU_DEP_3) | instskip(SKIP_1) | instid1(VALU_DEP_4)
	v_fma_f32 v7, v18, v71, -v7
	v_mul_f32_e32 v18, v25, v84
	v_dual_fmac_f32 v17, v25, v83 :: v_dual_add_nc_u32 v12, 0x1400, v92
	v_fma_f32 v11, v20, v73, -v11
	v_fmac_f32_e32 v15, v23, v81
	v_fma_f32 v16, v24, v81, -v16
	v_fmac_f32_e32 v13, v21, v67
	v_fma_f32 v18, v26, v83, -v18
	ds_store_2addr_b64 v5, v[2:3], v[6:7] offset0:60 offset1:148
	ds_store_2addr_b64 v4, v[8:9], v[10:11] offset0:48 offset1:136
	ds_store_b64 v92, v[15:16] offset:2816
	ds_store_2addr_b64 v12, v[13:14], v[17:18] offset0:108 offset1:196
	s_and_saveexec_b32 s12, vcc_lo
	s_cbranch_execz .LBB0_3
; %bb.2:
	v_add_co_u32 v0, s2, v0, s2
	s_wait_alu 0xf1ff
	v_add_co_ci_u32_e64 v1, s2, s3, v1, s2
	s_delay_alu instid0(VALU_DEP_2) | instskip(SKIP_1) | instid1(VALU_DEP_2)
	v_add_co_u32 v2, s2, v0, s10
	s_wait_alu 0xf1ff
	v_add_co_ci_u32_e64 v3, s2, s11, v1, s2
	global_load_b64 v[0:1], v[0:1], off
	s_clause 0x1
	global_load_b64 v[6:7], v[65:66], off offset:3520
	global_load_b64 v[8:9], v[65:66], off offset:7392
	global_load_b64 v[2:3], v[2:3], off
	s_wait_loadcnt 0x2
	v_mul_f32_e32 v10, v1, v7
	v_mul_f32_e32 v11, v0, v7
	s_wait_loadcnt 0x0
	v_mul_f32_e32 v7, v3, v9
	s_delay_alu instid0(VALU_DEP_3) | instskip(NEXT) | instid1(VALU_DEP_3)
	v_dual_mul_f32 v9, v2, v9 :: v_dual_fmac_f32 v10, v0, v6
	v_fma_f32 v11, v1, v6, -v11
	s_delay_alu instid0(VALU_DEP_3) | instskip(NEXT) | instid1(VALU_DEP_3)
	v_fmac_f32_e32 v7, v2, v8
	v_fma_f32 v8, v3, v8, -v9
	ds_store_b64 v92, v[10:11] offset:3520
	ds_store_b64 v92, v[7:8] offset:7392
.LBB0_3:
	s_wait_alu 0xfffe
	s_or_b32 exec_lo, exec_lo, s12
	v_add_nc_u32_e32 v0, 0x800, v92
	global_wb scope:SCOPE_SE
	s_wait_dscnt 0x0
	s_wait_kmcnt 0x0
	s_barrier_signal -1
	s_barrier_wait -1
	global_inv scope:SCOPE_SE
	ds_load_2addr_b64 v[8:11], v92 offset1:88
	ds_load_2addr_b64 v[0:3], v0 offset0:96 offset1:228
	ds_load_2addr_b64 v[16:19], v5 offset0:60 offset1:148
	ds_load_2addr_b64 v[4:7], v4 offset0:48 offset1:136
	ds_load_2addr_b64 v[12:15], v12 offset0:108 offset1:196
                                        ; implicit-def: $vgpr22
                                        ; implicit-def: $vgpr20
	s_and_saveexec_b32 s2, vcc_lo
	s_cbranch_execz .LBB0_5
; %bb.4:
	ds_load_b64 v[20:21], v92 offset:3520
	ds_load_b64 v[22:23], v92 offset:7392
.LBB0_5:
	s_wait_alu 0xfffe
	s_or_b32 exec_lo, exec_lo, s2
	s_load_b64 s[0:1], s[0:1], 0x8
	s_wait_dscnt 0x3
	v_dual_sub_f32 v32, v8, v2 :: v_dual_sub_f32 v33, v9, v3
	s_wait_dscnt 0x2
	v_dual_sub_f32 v37, v11, v17 :: v_dual_lshlrev_b32 v24, 1, v91
	v_add_co_u32 v29, null, 0x1b8, v91
	s_delay_alu instid0(VALU_DEP_3)
	v_fma_f32 v30, v8, 2.0, -v32
	s_wait_dscnt 0x1
	v_dual_sub_f32 v36, v10, v16 :: v_dual_sub_f32 v19, v5, v19
	v_fma_f32 v31, v9, 2.0, -v33
	s_wait_dscnt 0x0
	v_dual_sub_f32 v18, v4, v18 :: v_dual_sub_f32 v9, v7, v13
	v_dual_sub_f32 v8, v6, v12 :: v_dual_sub_f32 v13, v1, v15
	;; [unrolled: 1-line block ×3, first 2 shown]
	v_dual_sub_f32 v2, v20, v22 :: v_dual_add_nc_u32 v25, 0xb0, v24
	v_add_nc_u32_e32 v26, 0x160, v24
	v_add_nc_u32_e32 v27, 0x210, v24
	;; [unrolled: 1-line block ×3, first 2 shown]
	v_fma_f32 v34, v10, 2.0, -v36
	v_fma_f32 v35, v11, 2.0, -v37
	;; [unrolled: 1-line block ×6, first 2 shown]
	v_lshl_add_u32 v98, v91, 4, v93
	v_lshl_add_u32 v103, v25, 3, v93
	;; [unrolled: 1-line block ×6, first 2 shown]
	v_fma_f32 v16, v4, 2.0, -v18
	v_fma_f32 v17, v5, 2.0, -v19
	;; [unrolled: 1-line block ×4, first 2 shown]
	global_wb scope:SCOPE_SE
	s_wait_kmcnt 0x0
	s_barrier_signal -1
	s_barrier_wait -1
	global_inv scope:SCOPE_SE
	ds_store_b128 v98, v[30:33]
	ds_store_b128 v103, v[34:37]
	;; [unrolled: 1-line block ×5, first 2 shown]
	s_and_saveexec_b32 s2, vcc_lo
	s_cbranch_execz .LBB0_7
; %bb.6:
	ds_store_b128 v99, v[0:3]
.LBB0_7:
	s_wait_alu 0xfffe
	s_or_b32 exec_lo, exec_lo, s2
	v_add_nc_u32_e32 v4, 0x800, v92
	v_add_nc_u32_e32 v8, 0x1000, v92
	;; [unrolled: 1-line block ×4, first 2 shown]
	global_wb scope:SCOPE_SE
	s_wait_dscnt 0x0
	s_barrier_signal -1
	s_barrier_wait -1
	global_inv scope:SCOPE_SE
	ds_load_2addr_b64 v[12:15], v92 offset1:88
	ds_load_2addr_b64 v[4:7], v4 offset0:96 offset1:228
	ds_load_2addr_b64 v[20:23], v8 offset0:60 offset1:148
	;; [unrolled: 1-line block ×4, first 2 shown]
	s_and_saveexec_b32 s2, vcc_lo
	s_cbranch_execz .LBB0_9
; %bb.8:
	ds_load_b64 v[0:1], v92 offset:3520
	ds_load_b64 v[2:3], v92 offset:7392
.LBB0_9:
	s_wait_alu 0xfffe
	s_or_b32 exec_lo, exec_lo, s2
	v_and_b32_e32 v96, 1, v91
	s_delay_alu instid0(VALU_DEP_1)
	v_lshlrev_b32_e32 v30, 3, v96
	global_load_b64 v[87:88], v30, s[0:1]
	v_lshlrev_b32_e32 v95, 1, v29
	v_and_or_b32 v29, 0xfc, v24, v96
	global_wb scope:SCOPE_SE
	s_wait_loadcnt_dscnt 0x0
	s_barrier_signal -1
	s_barrier_wait -1
	global_inv scope:SCOPE_SE
	v_lshl_add_u32 v108, v29, 3, v93
	v_mul_f32_e32 v29, v7, v88
	v_and_or_b32 v30, 0x1fc, v25, v96
	v_and_or_b32 v31, 0x3fc, v26, v96
	;; [unrolled: 1-line block ×4, first 2 shown]
	v_mul_f32_e32 v40, v2, v88
	v_lshl_add_u32 v107, v30, 3, v93
	v_mul_f32_e32 v30, v6, v88
	v_lshl_add_u32 v106, v31, 3, v93
	v_mul_f32_e32 v31, v21, v88
	v_lshl_add_u32 v105, v32, 3, v93
	v_lshl_add_u32 v104, v33, 3, v93
	v_fmac_f32_e32 v30, v7, v87
	v_mul_f32_e32 v32, v20, v88
	v_mul_f32_e32 v36, v16, v88
	;; [unrolled: 1-line block ×3, first 2 shown]
	v_fma_f32 v6, v6, v87, -v29
	v_mul_f32_e32 v39, v3, v88
	v_dual_fmac_f32 v40, v3, v87 :: v_dual_sub_f32 v3, v13, v30
	v_dual_mul_f32 v33, v23, v88 :: v_dual_fmac_f32 v32, v21, v87
	v_mul_f32_e32 v34, v22, v88
	v_fma_f32 v7, v20, v87, -v31
	v_fmac_f32_e32 v36, v17, v87
	s_delay_alu instid0(VALU_DEP_4) | instskip(SKIP_3) | instid1(VALU_DEP_3)
	v_fma_f32 v20, v22, v87, -v33
	v_fma_f32 v22, v18, v87, -v37
	v_mul_f32_e32 v38, v18, v88
	v_fma_f32 v13, v13, 2.0, -v3
	v_sub_f32_e32 v29, v4, v22
	v_dual_mul_f32 v35, v17, v88 :: v_dual_fmac_f32 v34, v23, v87
	v_fma_f32 v23, v2, v87, -v39
	v_fmac_f32_e32 v38, v19, v87
	v_sub_f32_e32 v2, v12, v6
	s_delay_alu instid0(VALU_DEP_4) | instskip(SKIP_3) | instid1(VALU_DEP_4)
	v_fma_f32 v21, v16, v87, -v35
	v_dual_sub_f32 v6, v14, v7 :: v_dual_sub_f32 v7, v15, v32
	v_dual_sub_f32 v22, v0, v23 :: v_dual_sub_f32 v23, v1, v40
	;; [unrolled: 1-line block ×4, first 2 shown]
	v_sub_f32_e32 v30, v5, v38
	v_fma_f32 v12, v12, 2.0, -v2
	v_fma_f32 v20, v0, 2.0, -v22
	;; [unrolled: 1-line block ×11, first 2 shown]
	ds_store_2addr_b64 v108, v[12:13], v[2:3] offset1:2
	ds_store_2addr_b64 v107, v[14:15], v[6:7] offset1:2
	;; [unrolled: 1-line block ×5, first 2 shown]
	s_and_saveexec_b32 s2, vcc_lo
	s_cbranch_execz .LBB0_11
; %bb.10:
	v_and_or_b32 v0, 0x3fc, v95, v96
	s_delay_alu instid0(VALU_DEP_1)
	v_lshl_add_u32 v0, v0, 3, v93
	ds_store_2addr_b64 v0, v[20:21], v[22:23] offset1:2
.LBB0_11:
	s_wait_alu 0xfffe
	s_or_b32 exec_lo, exec_lo, s2
	v_add_nc_u32_e32 v0, 0x800, v92
	v_add_nc_u32_e32 v4, 0x1000, v92
	v_add_nc_u32_e32 v5, 0x400, v92
	v_add_nc_u32_e32 v12, 0x1400, v92
	global_wb scope:SCOPE_SE
	s_wait_dscnt 0x0
	s_barrier_signal -1
	s_barrier_wait -1
	global_inv scope:SCOPE_SE
	ds_load_2addr_b64 v[8:11], v92 offset1:88
	ds_load_2addr_b64 v[0:3], v0 offset0:96 offset1:228
	ds_load_2addr_b64 v[16:19], v4 offset0:60 offset1:148
	;; [unrolled: 1-line block ×4, first 2 shown]
	s_and_saveexec_b32 s2, vcc_lo
	s_cbranch_execz .LBB0_13
; %bb.12:
	ds_load_b64 v[20:21], v92 offset:3520
	ds_load_b64 v[22:23], v92 offset:7392
.LBB0_13:
	s_wait_alu 0xfffe
	s_or_b32 exec_lo, exec_lo, s2
	v_and_b32_e32 v97, 3, v91
	s_delay_alu instid0(VALU_DEP_1)
	v_lshlrev_b32_e32 v29, 3, v97
	v_and_or_b32 v24, 0xf8, v24, v97
	global_load_b64 v[89:90], v29, s[0:1] offset:16
	v_lshl_add_u32 v113, v24, 3, v93
	global_wb scope:SCOPE_SE
	s_wait_loadcnt_dscnt 0x0
	s_barrier_signal -1
	s_barrier_wait -1
	global_inv scope:SCOPE_SE
	v_mul_f32_e32 v24, v3, v90
	v_and_or_b32 v27, 0x3f8, v27, v97
	v_and_or_b32 v28, 0x3f8, v28, v97
	;; [unrolled: 1-line block ×4, first 2 shown]
	v_mul_f32_e32 v29, v18, v90
	v_lshl_add_u32 v110, v27, 3, v93
	v_lshl_add_u32 v109, v28, 3, v93
	v_mul_f32_e32 v27, v16, v90
	v_mul_f32_e32 v28, v19, v90
	v_lshl_add_u32 v111, v26, 3, v93
	v_mul_f32_e32 v26, v17, v90
	v_mul_f32_e32 v31, v12, v90
	v_dual_fmac_f32 v27, v17, v89 :: v_dual_mul_f32 v32, v15, v90
	v_fma_f32 v17, v18, v89, -v28
	v_lshl_add_u32 v112, v25, 3, v93
	s_delay_alu instid0(VALU_DEP_4)
	v_fmac_f32_e32 v31, v13, v89
	v_mul_f32_e32 v25, v2, v90
	v_mul_f32_e32 v33, v14, v90
	v_fma_f32 v2, v2, v89, -v24
	v_fmac_f32_e32 v29, v19, v89
	v_fma_f32 v19, v14, v89, -v32
	v_sub_f32_e32 v14, v4, v17
	v_dual_mul_f32 v30, v13, v90 :: v_dual_fmac_f32 v25, v3, v89
	v_mul_f32_e32 v34, v23, v90
	v_mul_f32_e32 v35, v22, v90
	v_fma_f32 v16, v16, v89, -v26
	s_delay_alu instid0(VALU_DEP_4)
	v_fma_f32 v18, v12, v89, -v30
	v_sub_f32_e32 v3, v9, v25
	v_fmac_f32_e32 v33, v15, v89
	v_fma_f32 v22, v22, v89, -v34
	v_dual_fmac_f32 v35, v23, v89 :: v_dual_sub_f32 v2, v8, v2
	v_dual_sub_f32 v12, v10, v16 :: v_dual_sub_f32 v13, v11, v27
	s_delay_alu instid0(VALU_DEP_3)
	v_dual_sub_f32 v60, v20, v22 :: v_dual_sub_f32 v15, v5, v29
	v_dual_sub_f32 v16, v6, v18 :: v_dual_sub_f32 v17, v7, v31
	;; [unrolled: 1-line block ×3, first 2 shown]
	v_sub_f32_e32 v61, v21, v35
	v_fma_f32 v8, v8, 2.0, -v2
	v_fma_f32 v9, v9, 2.0, -v3
	;; [unrolled: 1-line block ×10, first 2 shown]
	ds_store_2addr_b64 v113, v[8:9], v[2:3] offset1:4
	ds_store_2addr_b64 v112, v[10:11], v[12:13] offset1:4
	;; [unrolled: 1-line block ×5, first 2 shown]
	s_and_saveexec_b32 s2, vcc_lo
	s_cbranch_execz .LBB0_15
; %bb.14:
	v_and_or_b32 v2, 0x3f8, v95, v97
	v_fma_f32 v1, v21, 2.0, -v61
	v_fma_f32 v0, v20, 2.0, -v60
	s_delay_alu instid0(VALU_DEP_3)
	v_lshl_add_u32 v2, v2, 3, v93
	ds_store_2addr_b64 v2, v[0:1], v[60:61] offset1:4
.LBB0_15:
	s_wait_alu 0xfffe
	s_or_b32 exec_lo, exec_lo, s2
	v_and_b32_e32 v28, 7, v91
	global_wb scope:SCOPE_SE
	s_wait_dscnt 0x0
	s_barrier_signal -1
	s_barrier_wait -1
	global_inv scope:SCOPE_SE
	v_mad_co_u64_u32 v[8:9], null, 0x50, v28, s[0:1]
	v_lshrrev_b32_e32 v33, 3, v91
	v_mad_co_u64_u32 v[43:44], null, 0x50, v91, s[0:1]
	s_add_nc_u64 s[0:1], s[16:17], 0x1e40
	s_clause 0x4
	global_load_b128 v[16:19], v[8:9], off offset:48
	global_load_b128 v[12:15], v[8:9], off offset:64
	;; [unrolled: 1-line block ×5, first 2 shown]
	ds_load_2addr_b64 v[20:23], v92 offset1:88
	v_mul_u32_u24_e32 v45, 0x58, v33
	v_add_nc_u32_e32 v115, 0x400, v92
	ds_load_b64 v[41:42], v92 offset:7040
	v_or_b32_e32 v28, v45, v28
	s_delay_alu instid0(VALU_DEP_1)
	v_lshl_add_u32 v114, v28, 3, v93
	s_wait_loadcnt_dscnt 0x401
	v_mul_f32_e32 v28, v23, v17
	ds_load_2addr_b64 v[24:27], v115 offset0:48 offset1:136
	v_add_nc_u32_e32 v116, 0x800, v92
	v_add_nc_u32_e32 v118, 0x1000, v92
	v_add_nc_u32_e32 v117, 0x1400, v92
	s_wait_loadcnt_dscnt 0x1
	v_dual_mul_f32 v45, v22, v17 :: v_dual_mul_f32 v120, v41, v11
	v_fma_f32 v22, v22, v16, -v28
	v_mul_f32_e32 v119, v42, v11
	s_delay_alu instid0(VALU_DEP_3) | instskip(NEXT) | instid1(VALU_DEP_2)
	v_dual_fmac_f32 v45, v23, v16 :: v_dual_fmac_f32 v120, v42, v10
	v_fma_f32 v41, v41, v10, -v119
	s_wait_dscnt 0x0
	v_mul_f32_e32 v46, v25, v19
	ds_load_2addr_b64 v[37:40], v117 offset0:64 offset1:152
	v_mul_f32_e32 v47, v24, v19
	ds_load_2addr_b64 v[29:32], v116 offset0:96 offset1:184
	;; [unrolled: 2-line block ×3, first 2 shown]
	v_mul_f32_e32 v48, v27, v13
	v_fma_f32 v23, v24, v18, -v46
	v_fmac_f32_e32 v47, v25, v18
	v_fmac_f32_e32 v49, v27, v12
	global_wb scope:SCOPE_SE
	s_wait_dscnt 0x0
	s_barrier_signal -1
	s_barrier_wait -1
	global_inv scope:SCOPE_SE
	v_dual_mul_f32 v58, v38, v3 :: v_dual_mul_f32 v63, v39, v9
	v_dual_mul_f32 v50, v30, v15 :: v_dual_mul_f32 v53, v31, v5
	;; [unrolled: 1-line block ×5, first 2 shown]
	v_fma_f32 v24, v26, v12, -v48
	v_fma_f32 v25, v29, v14, -v50
	;; [unrolled: 1-line block ×3, first 2 shown]
	v_fmac_f32_e32 v59, v38, v2
	v_dual_mul_f32 v54, v34, v7 :: v_dual_mul_f32 v57, v35, v1
	v_fmac_f32_e32 v53, v32, v4
	v_dual_fmac_f32 v63, v40, v8 :: v_dual_add_f32 v32, v22, v41
	v_add_f32_e32 v40, v24, v29
	v_dual_sub_f32 v46, v49, v59 :: v_dual_fmac_f32 v55, v34, v6
	v_dual_fmac_f32 v51, v30, v14 :: v_dual_sub_f32 v34, v45, v120
	v_fma_f32 v26, v31, v4, -v52
	v_dual_fmac_f32 v57, v36, v0 :: v_dual_add_f32 v42, v49, v59
	v_fma_f32 v38, v39, v8, -v62
	v_dual_add_f32 v30, v20, v22 :: v_dual_add_f32 v31, v21, v45
	v_fma_f32 v27, v33, v6, -v54
	v_fma_f32 v28, v35, v0, -v56
	v_dual_add_f32 v33, v45, v120 :: v_dual_sub_f32 v50, v51, v57
	v_sub_f32_e32 v22, v22, v41
	v_add_f32_e32 v36, v47, v63
	v_sub_f32_e32 v39, v47, v63
	v_dual_sub_f32 v45, v24, v29 :: v_dual_sub_f32 v56, v53, v55
	v_dual_add_f32 v35, v23, v38 :: v_dual_add_f32 v48, v25, v28
	v_dual_sub_f32 v37, v23, v38 :: v_dual_sub_f32 v52, v25, v28
	v_dual_add_f32 v23, v30, v23 :: v_dual_mul_f32 v124, 0xbf7d64f0, v22
	v_dual_add_f32 v30, v31, v47 :: v_dual_mul_f32 v121, 0xbf68dda4, v34
	;; [unrolled: 1-line block ×3, first 2 shown]
	v_dual_sub_f32 v62, v26, v27 :: v_dual_mul_f32 v47, 0xbf0a6770, v22
	v_mul_f32_e32 v122, 0xbf68dda4, v22
	v_dual_mul_f32 v123, 0xbf7d64f0, v34 :: v_dual_mul_f32 v136, 0xbf7d64f0, v45
	v_dual_mul_f32 v125, 0xbf4178ce, v34 :: v_dual_mul_f32 v130, 0xbf4178ce, v37
	;; [unrolled: 1-line block ×9, first 2 shown]
	v_dual_mul_f32 v22, 0xbe903f40, v22 :: v_dual_add_f32 v23, v23, v24
	v_mul_f32_e32 v135, 0xbf7d64f0, v46
	v_dual_mul_f32 v137, 0x3e903f40, v46 :: v_dual_mul_f32 v138, 0x3e903f40, v45
	v_dual_mul_f32 v139, 0x3f68dda4, v46 :: v_dual_mul_f32 v140, 0x3f68dda4, v45
	;; [unrolled: 1-line block ×3, first 2 shown]
	v_dual_mul_f32 v143, 0xbf4178ce, v50 :: v_dual_add_f32 v24, v30, v49
	v_dual_add_f32 v54, v51, v57 :: v_dual_add_f32 v119, v53, v55
	v_dual_mul_f32 v37, 0x3f0a6770, v37 :: v_dual_mul_f32 v156, 0x3f0a6770, v62
	v_dual_mul_f32 v150, 0xbe903f40, v52 :: v_dual_mul_f32 v155, 0xbe903f40, v62
	v_fma_f32 v30, 0x3f575c64, v32, -v31
	v_mul_f32_e32 v147, 0xbf4178ce, v52
	v_dual_fmamk_f32 v49, v33, 0x3f575c64, v47 :: v_dual_fmamk_f32 v180, v42, 0x3f575c64, v142
	v_mul_f32_e32 v144, 0x3f7d64f0, v50
	v_fmac_f32_e32 v31, 0x3f575c64, v32
	v_fma_f32 v47, 0x3f575c64, v33, -v47
	v_fma_f32 v159, 0x3ed4b147, v32, -v121
	v_mul_f32_e32 v148, 0x3f7d64f0, v52
	v_dual_fmamk_f32 v160, v33, 0x3ed4b147, v122 :: v_dual_fmac_f32 v121, 0x3ed4b147, v32
	v_mul_f32_e32 v158, 0x3f68dda4, v62
	v_fma_f32 v122, 0x3ed4b147, v33, -v122
	v_mul_f32_e32 v149, 0xbf0a6770, v52
	s_delay_alu instid0(VALU_DEP_4)
	v_dual_mul_f32 v52, 0x3f68dda4, v52 :: v_dual_add_f32 v121, v20, v121
	v_fma_f32 v161, 0xbe11bafb, v32, -v123
	v_mul_f32_e32 v145, 0xbf0a6770, v50
	v_dual_fmamk_f32 v162, v33, 0xbe11bafb, v124 :: v_dual_fmac_f32 v123, 0xbe11bafb, v32
	v_mul_f32_e32 v154, 0x3f68dda4, v56
	v_fma_f32 v124, 0xbe11bafb, v33, -v124
	v_mul_f32_e32 v157, 0xbf4178ce, v62
	s_delay_alu instid0(VALU_DEP_4)
	v_dual_mul_f32 v62, 0xbf7d64f0, v62 :: v_dual_add_f32 v123, v20, v123
	v_fma_f32 v163, 0xbf27a4f4, v32, -v125
	v_mul_f32_e32 v153, 0xbf4178ce, v56
	v_mul_f32_e32 v56, 0xbf7d64f0, v56
	v_dual_fmamk_f32 v164, v33, 0xbf27a4f4, v126 :: v_dual_fmac_f32 v125, 0xbf27a4f4, v32
	v_fma_f32 v126, 0xbf27a4f4, v33, -v126
	v_fma_f32 v190, 0x3f575c64, v58, -v152
	v_fmac_f32_e32 v152, 0x3f575c64, v58
	v_dual_mul_f32 v146, 0xbe903f40, v50 :: v_dual_add_f32 v31, v20, v31
	v_dual_mul_f32 v50, 0x3f68dda4, v50 :: v_dual_add_f32 v47, v21, v47
	v_fma_f32 v165, 0xbf75a155, v32, -v34
	v_fmamk_f32 v166, v33, 0xbf75a155, v22
	v_fmac_f32_e32 v34, 0xbf75a155, v32
	v_fma_f32 v22, 0xbf75a155, v33, -v22
	v_fma_f32 v179, 0x3f575c64, v40, -v141
	v_dual_fmac_f32 v141, 0x3f575c64, v40 :: v_dual_add_f32 v24, v24, v51
	v_dual_fmamk_f32 v182, v42, 0xbf27a4f4, v45 :: v_dual_add_f32 v23, v23, v25
	v_fma_f32 v32, 0x3ed4b147, v35, -v127
	v_dual_fmamk_f32 v33, v36, 0x3ed4b147, v128 :: v_dual_add_f32 v126, v21, v126
	v_dual_fmac_f32 v127, 0x3ed4b147, v35 :: v_dual_fmamk_f32 v178, v42, 0x3ed4b147, v140
	v_fma_f32 v128, 0x3ed4b147, v36, -v128
	v_fma_f32 v167, 0xbf27a4f4, v35, -v129
	v_dual_fmamk_f32 v168, v36, 0xbf27a4f4, v130 :: v_dual_fmac_f32 v129, 0xbf27a4f4, v35
	v_fma_f32 v130, 0xbf27a4f4, v36, -v130
	v_fma_f32 v169, 0xbf75a155, v35, -v131
	v_dual_fmamk_f32 v170, v36, 0xbf75a155, v132 :: v_dual_fmac_f32 v131, 0xbf75a155, v35
	;; [unrolled: 3-line block ×3, first 2 shown]
	v_fma_f32 v134, 0xbe11bafb, v36, -v134
	v_fma_f32 v173, 0x3f575c64, v35, -v39
	v_fmamk_f32 v174, v36, 0x3f575c64, v37
	v_dual_fmac_f32 v39, 0x3f575c64, v35 :: v_dual_fmamk_f32 v194, v119, 0x3f575c64, v156
	v_fma_f32 v35, 0x3f575c64, v36, -v37
	v_fma_f32 v36, 0xbe11bafb, v40, -v135
	v_fmamk_f32 v37, v42, 0xbe11bafb, v136
	v_dual_fmac_f32 v135, 0xbe11bafb, v40 :: v_dual_fmamk_f32 v186, v54, 0xbe11bafb, v148
	v_fma_f32 v136, 0xbe11bafb, v42, -v136
	v_fma_f32 v175, 0xbf75a155, v40, -v137
	v_dual_fmamk_f32 v176, v42, 0xbf75a155, v138 :: v_dual_add_f32 v125, v20, v125
	v_fmac_f32_e32 v137, 0xbf75a155, v40
	v_fma_f32 v138, 0xbf75a155, v42, -v138
	v_fma_f32 v177, 0x3ed4b147, v40, -v139
	v_fmac_f32_e32 v139, 0x3ed4b147, v40
	v_fma_f32 v140, 0x3ed4b147, v42, -v140
	v_fma_f32 v142, 0x3f575c64, v42, -v142
	;; [unrolled: 1-line block ×3, first 2 shown]
	v_fmac_f32_e32 v46, 0xbf27a4f4, v40
	v_fma_f32 v40, 0xbf27a4f4, v42, -v45
	v_fma_f32 v42, 0xbf27a4f4, v48, -v143
	v_fmac_f32_e32 v143, 0xbf27a4f4, v48
	v_fma_f32 v183, 0x3f575c64, v48, -v145
	v_fmac_f32_e32 v145, 0x3f575c64, v48
	;; [unrolled: 2-line block ×4, first 2 shown]
	v_fma_f32 v148, 0xbe11bafb, v54, -v148
	v_fmamk_f32 v188, v54, 0xbf75a155, v150
	v_fma_f32 v150, 0xbf75a155, v54, -v150
	v_fma_f32 v191, 0xbf27a4f4, v58, -v153
	v_fmac_f32_e32 v153, 0xbf27a4f4, v58
	v_fma_f32 v192, 0x3ed4b147, v58, -v154
	v_fmac_f32_e32 v154, 0x3ed4b147, v58
	v_fma_f32 v193, 0xbe11bafb, v58, -v56
	v_fmac_f32_e32 v56, 0xbe11bafb, v58
	v_fma_f32 v156, 0x3f575c64, v119, -v156
	v_fmamk_f32 v196, v119, 0x3ed4b147, v158
	v_fma_f32 v158, 0x3ed4b147, v119, -v158
	v_fmamk_f32 v197, v119, 0xbe11bafb, v62
	v_fma_f32 v62, 0xbe11bafb, v119, -v62
	v_dual_add_f32 v30, v20, v30 :: v_dual_add_f32 v49, v21, v49
	v_fma_f32 v45, 0xbe11bafb, v48, -v144
	v_dual_fmac_f32 v144, 0xbe11bafb, v48 :: v_dual_add_f32 v25, v21, v166
	v_fmamk_f32 v48, v54, 0xbf27a4f4, v147
	v_fma_f32 v147, 0xbf27a4f4, v54, -v147
	v_fmamk_f32 v189, v54, 0x3ed4b147, v52
	v_fma_f32 v52, 0x3ed4b147, v54, -v52
	v_dual_add_f32 v122, v21, v122 :: v_dual_fmamk_f32 v187, v54, 0x3f575c64, v149
	v_fma_f32 v149, 0x3f575c64, v54, -v149
	v_fma_f32 v54, 0xbf75a155, v58, -v151
	v_fmac_f32_e32 v151, 0xbf75a155, v58
	v_fmamk_f32 v58, v119, 0xbf75a155, v155
	v_fma_f32 v155, 0xbf75a155, v119, -v155
	v_dual_add_f32 v124, v21, v124 :: v_dual_fmamk_f32 v195, v119, 0xbf27a4f4, v157
	v_fma_f32 v157, 0xbf27a4f4, v119, -v157
	v_add_f32_e32 v119, v20, v159
	v_dual_add_f32 v159, v21, v160 :: v_dual_add_f32 v160, v20, v161
	v_dual_add_f32 v161, v21, v162 :: v_dual_add_f32 v162, v20, v163
	;; [unrolled: 1-line block ×3, first 2 shown]
	v_add_f32_e32 v20, v20, v34
	v_add_f32_e32 v34, v129, v121
	;; [unrolled: 1-line block ×3, first 2 shown]
	v_dual_add_f32 v22, v23, v26 :: v_dual_add_f32 v23, v24, v53
	v_add_f32_e32 v24, v32, v30
	v_add_f32_e32 v26, v33, v49
	;; [unrolled: 1-line block ×10, first 2 shown]
	v_dual_add_f32 v119, v132, v124 :: v_dual_add_f32 v124, v134, v126
	v_dual_add_f32 v121, v171, v162 :: v_dual_add_f32 v22, v22, v27
	;; [unrolled: 1-line block ×5, first 2 shown]
	v_add_f32_e32 v125, v173, v164
	v_dual_add_f32 v21, v35, v21 :: v_dual_add_f32 v24, v36, v24
	v_dual_add_f32 v27, v135, v30 :: v_dual_add_f32 v30, v136, v31
	;; [unrolled: 1-line block ×9, first 2 shown]
	v_add_f32_e32 v23, v23, v57
	v_dual_add_f32 v47, v179, v121 :: v_dual_add_f32 v26, v48, v26
	v_add_f32_e32 v53, v142, v124
	v_add_f32_e32 v55, v181, v125
	v_dual_add_f32 v30, v45, v31 :: v_dual_add_f32 v31, v186, v32
	v_add_f32_e32 v32, v144, v33
	v_dual_add_f32 v33, v148, v34 :: v_dual_add_f32 v34, v183, v35
	s_delay_alu instid0(VALU_DEP_4)
	v_dual_add_f32 v25, v182, v25 :: v_dual_add_f32 v46, v185, v55
	v_dual_add_f32 v21, v40, v21 :: v_dual_add_f32 v42, v146, v51
	v_add_f32_e32 v27, v143, v27
	v_dual_add_f32 v35, v187, v36 :: v_dual_add_f32 v36, v145, v37
	v_dual_add_f32 v37, v149, v39 :: v_dual_add_f32 v40, v188, v49
	v_add_f32_e32 v48, v50, v20
	v_add_f32_e32 v20, v54, v24
	v_dual_add_f32 v50, v22, v29 :: v_dual_add_f32 v51, v23, v59
	v_add_f32_e32 v39, v184, v47
	v_add_f32_e32 v47, v189, v25
	v_dual_add_f32 v45, v150, v53 :: v_dual_add_f32 v22, v151, v27
	v_add_f32_e32 v49, v52, v21
	v_dual_add_f32 v23, v155, v28 :: v_dual_add_f32 v24, v190, v30
	;; [unrolled: 2-line block ×4, first 2 shown]
	v_dual_add_f32 v40, v50, v38 :: v_dual_add_f32 v29, v195, v35
	v_dual_add_f32 v42, v51, v63 :: v_dual_add_f32 v21, v58, v26
	v_add_f32_e32 v26, v152, v32
	v_add_f32_e32 v32, v192, v39
	;; [unrolled: 1-line block ×5, first 2 shown]
	v_dual_add_f32 v35, v158, v45 :: v_dual_add_f32 v38, v56, v48
	v_add_f32_e32 v39, v62, v49
	ds_store_2addr_b64 v114, v[24:25], v[28:29] offset0:16 offset1:24
	v_dual_add_f32 v24, v40, v41 :: v_dual_add_f32 v25, v42, v120
	ds_store_2addr_b64 v114, v[32:33], v[36:37] offset0:32 offset1:40
	ds_store_2addr_b64 v114, v[38:39], v[34:35] offset0:48 offset1:56
	;; [unrolled: 1-line block ×3, first 2 shown]
	ds_store_b64 v114, v[22:23] offset:640
	ds_store_2addr_b64 v114, v[24:25], v[20:21] offset1:8
	global_wb scope:SCOPE_SE
	s_wait_dscnt 0x0
	s_barrier_signal -1
	s_barrier_wait -1
	global_inv scope:SCOPE_SE
	s_clause 0x4
	global_load_b128 v[36:39], v[43:44], off offset:688
	global_load_b128 v[32:35], v[43:44], off offset:704
	;; [unrolled: 1-line block ×5, first 2 shown]
	ds_load_2addr_b64 v[40:43], v92 offset1:88
	ds_load_2addr_b64 v[56:59], v115 offset0:48 offset1:136
	ds_load_2addr_b64 v[52:55], v116 offset0:96 offset1:184
	;; [unrolled: 1-line block ×4, first 2 shown]
	ds_load_b64 v[62:63], v92 offset:7040
	s_wait_loadcnt_dscnt 0x405
	v_mul_f32_e32 v119, v43, v37
	s_wait_dscnt 0x4
	v_dual_mul_f32 v120, v42, v37 :: v_dual_mul_f32 v121, v57, v39
	s_wait_loadcnt_dscnt 0x203
	v_mul_f32_e32 v128, v54, v25
	s_wait_loadcnt_dscnt 0x0
	v_dual_mul_f32 v123, v59, v33 :: v_dual_mul_f32 v138, v62, v31
	v_dual_mul_f32 v133, v45, v23 :: v_dual_fmac_f32 v120, v43, v36
	v_mul_f32_e32 v134, v44, v23
	v_mul_f32_e32 v137, v63, v31
	;; [unrolled: 1-line block ×3, first 2 shown]
	v_dual_mul_f32 v124, v58, v33 :: v_dual_mul_f32 v125, v53, v35
	v_mul_f32_e32 v132, v50, v21
	v_dual_mul_f32 v126, v52, v35 :: v_dual_mul_f32 v127, v55, v25
	s_delay_alu instid0(VALU_DEP_4) | instskip(SKIP_2) | instid1(VALU_DEP_4)
	v_fmac_f32_e32 v122, v57, v38
	v_dual_mul_f32 v129, v49, v27 :: v_dual_mul_f32 v136, v46, v29
	v_dual_mul_f32 v130, v48, v27 :: v_dual_mul_f32 v131, v51, v21
	v_dual_fmac_f32 v126, v53, v34 :: v_dual_mul_f32 v135, v47, v29
	v_fma_f32 v42, v42, v36, -v119
	s_delay_alu instid0(VALU_DEP_3)
	v_fmac_f32_e32 v130, v49, v26
	v_fma_f32 v43, v56, v38, -v121
	v_fma_f32 v56, v58, v32, -v123
	v_fmac_f32_e32 v128, v55, v24
	v_fma_f32 v44, v44, v22, -v133
	v_fmac_f32_e32 v134, v45, v22
	;; [unrolled: 2-line block ×3, first 2 shown]
	v_dual_fmac_f32 v124, v59, v32 :: v_dual_add_f32 v45, v40, v42
	v_fma_f32 v52, v52, v34, -v125
	v_fma_f32 v53, v54, v24, -v127
	;; [unrolled: 1-line block ×4, first 2 shown]
	v_dual_fmac_f32 v136, v47, v28 :: v_dual_sub_f32 v119, v124, v134
	v_dual_add_f32 v46, v41, v120 :: v_dual_add_f32 v47, v42, v55
	s_delay_alu instid0(VALU_DEP_3)
	v_dual_add_f32 v57, v43, v54 :: v_dual_sub_f32 v42, v42, v55
	v_sub_f32_e32 v59, v43, v54
	v_add_f32_e32 v63, v56, v44
	v_dual_fmac_f32 v132, v51, v20 :: v_dual_sub_f32 v51, v120, v138
	v_fma_f32 v48, v48, v26, -v129
	v_add_f32_e32 v50, v120, v138
	v_dual_add_f32 v58, v122, v136 :: v_dual_add_f32 v121, v124, v134
	v_dual_sub_f32 v62, v122, v136 :: v_dual_add_f32 v125, v52, v49
	v_dual_sub_f32 v120, v56, v44 :: v_dual_add_f32 v43, v45, v43
	v_sub_f32_e32 v123, v126, v132
	v_sub_f32_e32 v127, v52, v49
	v_add_f32_e32 v129, v126, v132
	v_dual_add_f32 v45, v46, v122 :: v_dual_mul_f32 v150, 0x3e903f40, v59
	v_mul_f32_e32 v46, 0xbf0a6770, v51
	v_dual_mul_f32 v122, 0xbf0a6770, v42 :: v_dual_add_f32 v133, v53, v48
	v_dual_mul_f32 v140, 0xbf68dda4, v42 :: v_dual_sub_f32 v135, v53, v48
	v_mul_f32_e32 v142, 0xbf7d64f0, v42
	v_dual_mul_f32 v143, 0xbf4178ce, v51 :: v_dual_mul_f32 v144, 0xbf4178ce, v42
	v_mul_f32_e32 v42, 0xbe903f40, v42
	v_dual_mul_f32 v160, 0xbf0a6770, v120 :: v_dual_mul_f32 v163, 0xbf0a6770, v123
	v_fma_f32 v177, 0x3f575c64, v47, -v46
	v_fmamk_f32 v178, v50, 0x3f575c64, v122
	v_fmac_f32_e32 v46, 0x3f575c64, v47
	v_mul_f32_e32 v139, 0xbf68dda4, v51
	v_fma_f32 v122, 0x3f575c64, v50, -v122
	v_mul_f32_e32 v141, 0xbf7d64f0, v51
	v_mul_f32_e32 v51, 0xbe903f40, v51
	v_dual_sub_f32 v131, v128, v130 :: v_dual_mul_f32 v146, 0xbf68dda4, v59
	v_dual_add_f32 v137, v128, v130 :: v_dual_mul_f32 v148, 0xbf4178ce, v59
	v_mul_f32_e32 v147, 0xbf4178ce, v62
	v_dual_mul_f32 v149, 0x3e903f40, v62 :: v_dual_mul_f32 v154, 0x3e903f40, v119
	v_dual_mul_f32 v151, 0x3f7d64f0, v62 :: v_dual_mul_f32 v152, 0x3f7d64f0, v59
	v_mul_f32_e32 v59, 0x3f0a6770, v59
	v_dual_mul_f32 v156, 0xbf0a6770, v119 :: v_dual_add_f32 v43, v43, v56
	v_fmamk_f32 v184, v50, 0xbf27a4f4, v144
	v_fma_f32 v144, 0xbf27a4f4, v50, -v144
	v_fmamk_f32 v186, v50, 0xbf75a155, v42
	v_add_f32_e32 v46, v40, v46
	v_fma_f32 v179, 0x3ed4b147, v47, -v139
	v_mul_f32_e32 v145, 0xbf68dda4, v62
	v_mul_f32_e32 v62, 0x3f0a6770, v62
	v_dual_fmamk_f32 v180, v50, 0x3ed4b147, v140 :: v_dual_fmac_f32 v139, 0x3ed4b147, v47
	v_fma_f32 v140, 0x3ed4b147, v50, -v140
	v_add_f32_e32 v122, v41, v122
	v_fmamk_f32 v182, v50, 0xbe11bafb, v142
	v_fma_f32 v142, 0xbe11bafb, v50, -v142
	s_delay_alu instid0(VALU_DEP_4)
	v_dual_mul_f32 v153, 0xbf7d64f0, v119 :: v_dual_add_f32 v140, v41, v140
	v_mul_f32_e32 v158, 0x3e903f40, v120
	v_dual_mul_f32 v159, 0x3f68dda4, v120 :: v_dual_mul_f32 v172, 0x3f68dda4, v131
	v_dual_mul_f32 v161, 0xbf4178ce, v123 :: v_dual_add_f32 v144, v41, v144
	v_dual_mul_f32 v162, 0x3f7d64f0, v123 :: v_dual_add_f32 v45, v45, v124
	v_mul_f32_e32 v166, 0x3f7d64f0, v127
	v_dual_mul_f32 v176, 0x3f68dda4, v135 :: v_dual_add_f32 v43, v43, v52
	v_mul_f32_e32 v167, 0xbf0a6770, v127
	v_fma_f32 v181, 0xbe11bafb, v47, -v141
	v_mul_f32_e32 v155, 0x3f68dda4, v119
	v_dual_mul_f32 v119, 0xbf4178ce, v119 :: v_dual_add_f32 v142, v41, v142
	v_fmac_f32_e32 v141, 0xbe11bafb, v47
	v_mul_f32_e32 v168, 0xbe903f40, v127
	v_mul_f32_e32 v170, 0x3f0a6770, v131
	v_fma_f32 v183, 0xbf27a4f4, v47, -v143
	v_mul_f32_e32 v157, 0xbf7d64f0, v120
	v_mul_f32_e32 v120, 0xbf4178ce, v120
	v_fmac_f32_e32 v143, 0xbf27a4f4, v47
	v_mul_f32_e32 v174, 0x3f0a6770, v135
	v_fma_f32 v185, 0xbf75a155, v47, -v51
	v_fmac_f32_e32 v51, 0xbf75a155, v47
	v_dual_mul_f32 v165, 0xbf4178ce, v127 :: v_dual_add_f32 v52, v41, v186
	v_fma_f32 v42, 0xbf75a155, v50, -v42
	v_fma_f32 v47, 0x3ed4b147, v57, -v145
	v_dual_fmamk_f32 v50, v58, 0x3ed4b147, v146 :: v_dual_fmac_f32 v145, 0x3ed4b147, v57
	v_mul_f32_e32 v127, 0x3f68dda4, v127
	v_fma_f32 v146, 0x3ed4b147, v58, -v146
	v_mul_f32_e32 v169, 0xbe903f40, v131
	v_fma_f32 v187, 0xbf27a4f4, v57, -v147
	v_dual_fmamk_f32 v188, v58, 0xbf27a4f4, v148 :: v_dual_fmac_f32 v147, 0xbf27a4f4, v57
	v_fma_f32 v148, 0xbf27a4f4, v58, -v148
	v_mul_f32_e32 v171, 0xbf4178ce, v131
	v_fma_f32 v189, 0xbf75a155, v57, -v149
	v_mul_f32_e32 v131, 0xbf7d64f0, v131
	v_dual_fmamk_f32 v190, v58, 0xbf75a155, v150 :: v_dual_fmac_f32 v149, 0xbf75a155, v57
	v_fma_f32 v150, 0xbf75a155, v58, -v150
	v_mul_f32_e32 v173, 0xbe903f40, v135
	v_fma_f32 v191, 0xbe11bafb, v57, -v151
	v_dual_fmamk_f32 v192, v58, 0xbe11bafb, v152 :: v_dual_fmac_f32 v151, 0xbe11bafb, v57
	v_fma_f32 v152, 0xbe11bafb, v58, -v152
	v_mul_f32_e32 v175, 0xbf4178ce, v135
	v_fma_f32 v193, 0x3f575c64, v57, -v62
	v_dual_fmac_f32 v62, 0x3f575c64, v57 :: v_dual_fmamk_f32 v205, v129, 0x3f575c64, v167
	v_fmamk_f32 v57, v58, 0x3f575c64, v59
	v_mul_f32_e32 v135, 0xbf7d64f0, v135
	v_fma_f32 v201, 0x3f575c64, v125, -v163
	v_fmac_f32_e32 v163, 0x3f575c64, v125
	v_mul_f32_e32 v164, 0xbe903f40, v123
	v_mul_f32_e32 v123, 0x3f68dda4, v123
	v_fma_f32 v58, 0x3f575c64, v58, -v59
	v_fma_f32 v59, 0xbe11bafb, v63, -v153
	v_fmac_f32_e32 v153, 0xbe11bafb, v63
	v_fma_f32 v194, 0xbf75a155, v63, -v154
	v_fmac_f32_e32 v154, 0xbf75a155, v63
	;; [unrolled: 2-line block ×3, first 2 shown]
	v_fma_f32 v196, 0x3f575c64, v63, -v156
	v_dual_fmac_f32 v156, 0x3f575c64, v63 :: v_dual_add_f32 v45, v45, v126
	v_fma_f32 v197, 0xbf27a4f4, v63, -v119
	v_fmac_f32_e32 v119, 0xbf27a4f4, v63
	v_dual_fmamk_f32 v56, v121, 0xbe11bafb, v157 :: v_dual_add_f32 v139, v40, v139
	v_fma_f32 v63, 0xbe11bafb, v121, -v157
	v_dual_fmamk_f32 v124, v121, 0xbf75a155, v158 :: v_dual_add_f32 v143, v40, v143
	v_fma_f32 v157, 0xbf75a155, v121, -v158
	v_fmamk_f32 v158, v121, 0x3ed4b147, v159
	v_fma_f32 v159, 0x3ed4b147, v121, -v159
	v_fmamk_f32 v198, v121, 0x3f575c64, v160
	;; [unrolled: 2-line block ×3, first 2 shown]
	v_fma_f32 v120, 0xbf27a4f4, v121, -v120
	v_fma_f32 v121, 0xbf27a4f4, v125, -v161
	v_fmac_f32_e32 v161, 0xbf27a4f4, v125
	v_fma_f32 v200, 0xbe11bafb, v125, -v162
	v_fmac_f32_e32 v162, 0xbe11bafb, v125
	v_fma_f32 v202, 0xbf75a155, v125, -v164
	v_fma_f32 v203, 0x3ed4b147, v125, -v123
	v_dual_fmac_f32 v123, 0x3ed4b147, v125 :: v_dual_fmamk_f32 v214, v137, 0x3ed4b147, v176
	v_fmamk_f32 v204, v129, 0xbe11bafb, v166
	v_fma_f32 v166, 0xbe11bafb, v129, -v166
	v_fma_f32 v167, 0x3f575c64, v129, -v167
	v_fmamk_f32 v206, v129, 0xbf75a155, v168
	v_fma_f32 v168, 0xbf75a155, v129, -v168
	v_fma_f32 v210, 0x3ed4b147, v133, -v172
	v_fmac_f32_e32 v172, 0x3ed4b147, v133
	v_fma_f32 v211, 0xbe11bafb, v133, -v131
	v_fmac_f32_e32 v131, 0xbe11bafb, v133
	v_fmamk_f32 v212, v137, 0x3f575c64, v174
	v_fma_f32 v174, 0x3f575c64, v137, -v174
	v_fma_f32 v176, 0x3ed4b147, v137, -v176
	v_add_f32_e32 v141, v40, v141
	v_fma_f32 v208, 0x3f575c64, v133, -v170
	v_fmac_f32_e32 v170, 0x3f575c64, v133
	v_add_f32_e32 v46, v145, v46
	v_fmamk_f32 v207, v129, 0x3ed4b147, v127
	v_fma_f32 v127, 0x3ed4b147, v129, -v127
	v_add_f32_e32 v126, v148, v140
	v_fma_f32 v209, 0xbf27a4f4, v133, -v171
	v_dual_fmac_f32 v171, 0xbf27a4f4, v133 :: v_dual_add_f32 v46, v153, v46
	v_add_f32_e32 v140, v150, v142
	v_fmac_f32_e32 v164, 0xbf75a155, v125
	v_fmamk_f32 v125, v129, 0xbf27a4f4, v165
	v_fma_f32 v165, 0xbf27a4f4, v129, -v165
	v_fma_f32 v129, 0xbf75a155, v133, -v169
	v_fmac_f32_e32 v169, 0xbf75a155, v133
	v_fmamk_f32 v133, v137, 0xbf75a155, v173
	v_fma_f32 v173, 0xbf75a155, v137, -v173
	v_dual_add_f32 v144, v152, v144 :: v_dual_fmamk_f32 v213, v137, 0xbf27a4f4, v175
	v_fma_f32 v175, 0xbf27a4f4, v137, -v175
	v_add_f32_e32 v52, v57, v52
	v_fmamk_f32 v215, v137, 0xbe11bafb, v135
	v_fma_f32 v135, 0xbe11bafb, v137, -v135
	v_add_f32_e32 v137, v40, v177
	v_dual_add_f32 v177, v41, v178 :: v_dual_add_f32 v178, v40, v179
	v_dual_add_f32 v179, v41, v180 :: v_dual_add_f32 v180, v40, v181
	;; [unrolled: 1-line block ×6, first 2 shown]
	v_add_f32_e32 v45, v47, v137
	v_add_f32_e32 v47, v50, v177
	;; [unrolled: 1-line block ×6, first 2 shown]
	v_dual_add_f32 v128, v189, v180 :: v_dual_add_f32 v137, v190, v181
	v_add_f32_e32 v142, v192, v183
	v_dual_add_f32 v143, v151, v143 :: v_dual_add_f32 v40, v62, v40
	v_add_f32_e32 v42, v42, v48
	v_add_f32_e32 v145, v193, v184
	v_dual_add_f32 v139, v149, v141 :: v_dual_add_f32 v62, v159, v140
	v_add_f32_e32 v41, v58, v41
	v_dual_add_f32 v45, v59, v45 :: v_dual_add_f32 v46, v161, v46
	v_dual_add_f32 v47, v56, v47 :: v_dual_add_f32 v52, v199, v52
	v_add_f32_e32 v48, v63, v50
	v_dual_add_f32 v50, v194, v51 :: v_dual_add_f32 v51, v124, v53
	v_dual_add_f32 v40, v119, v40 :: v_dual_add_f32 v53, v154, v122
	s_delay_alu instid0(VALU_DEP_3)
	v_add_f32_e32 v48, v165, v48
	v_dual_add_f32 v56, v157, v126 :: v_dual_add_f32 v57, v195, v128
	v_add_f32_e32 v58, v158, v137
	v_add_f32_e32 v122, v198, v142
	v_dual_add_f32 v141, v191, v182 :: v_dual_add_f32 v124, v156, v143
	v_dual_add_f32 v42, v42, v49 :: v_dual_add_f32 v43, v43, v130
	v_add_f32_e32 v128, v197, v145
	v_add_f32_e32 v45, v121, v45
	;; [unrolled: 1-line block ×8, first 2 shown]
	v_dual_add_f32 v53, v166, v56 :: v_dual_add_f32 v56, v201, v57
	v_add_f32_e32 v63, v196, v141
	v_add_f32_e32 v126, v160, v144
	v_dual_add_f32 v41, v120, v41 :: v_dual_add_f32 v120, v206, v122
	v_add_f32_e32 v43, v43, v132
	v_add_f32_e32 v47, v125, v47
	v_dual_add_f32 v57, v205, v58 :: v_dual_add_f32 v58, v163, v59
	v_add_f32_e32 v119, v167, v62
	v_dual_add_f32 v59, v202, v63 :: v_dual_add_f32 v62, v169, v46
	v_add_f32_e32 v46, v209, v56
	v_add_f32_e32 v125, v207, v52
	v_add_f32_e32 v52, v42, v44
	v_add_f32_e32 v122, v168, v126
	v_add_f32_e32 v126, v127, v41
	v_dual_add_f32 v42, v208, v49 :: v_dual_add_f32 v41, v133, v47
	s_delay_alu instid0(VALU_DEP_4) | instskip(SKIP_3) | instid1(VALU_DEP_3)
	v_add_f32_e32 v49, v52, v54
	v_add_f32_e32 v127, v43, v134
	;; [unrolled: 1-line block ×3, first 2 shown]
	v_dual_add_f32 v63, v173, v48 :: v_dual_add_f32 v48, v171, v58
	v_dual_add_f32 v56, v49, v55 :: v_dual_add_f32 v57, v127, v136
	;; [unrolled: 1-line block ×4, first 2 shown]
	s_delay_alu instid0(VALU_DEP_3)
	v_dual_add_f32 v57, v57, v138 :: v_dual_add_f32 v44, v170, v51
	v_add_f32_e32 v50, v210, v59
	v_add_f32_e32 v51, v214, v120
	;; [unrolled: 1-line block ×5, first 2 shown]
	v_dual_add_f32 v53, v176, v122 :: v_dual_add_f32 v58, v131, v123
	v_add_f32_e32 v59, v135, v126
	v_add_f32_e32 v49, v175, v119
	ds_store_2addr_b64 v92, v[56:57], v[40:41] offset1:88
	ds_store_2addr_b64 v115, v[42:43], v[46:47] offset0:48 offset1:136
	ds_store_2addr_b64 v116, v[50:51], v[54:55] offset0:96 offset1:184
	;; [unrolled: 1-line block ×4, first 2 shown]
	ds_store_b64 v92, v[62:63] offset:7040
	global_wb scope:SCOPE_SE
	s_wait_dscnt 0x0
	s_barrier_signal -1
	s_barrier_wait -1
	global_inv scope:SCOPE_SE
	s_clause 0x9
	global_load_b64 v[119:120], v[65:66], off offset:7744
	global_load_b64 v[121:122], v94, s[0:1] offset:3872
	global_load_b64 v[123:124], v94, s[0:1] offset:704
	;; [unrolled: 1-line block ×9, first 2 shown]
	ds_load_2addr_b64 v[40:43], v92 offset1:88
	ds_load_2addr_b64 v[44:47], v116 offset0:96 offset1:228
	ds_load_2addr_b64 v[48:51], v118 offset0:60 offset1:148
	;; [unrolled: 1-line block ×4, first 2 shown]
	s_wait_loadcnt_dscnt 0x904
	v_mul_f32_e32 v140, v41, v120
	v_mul_f32_e32 v139, v40, v120
	s_wait_loadcnt_dscnt 0x803
	v_mul_f32_e32 v141, v47, v122
	v_mul_f32_e32 v120, v46, v122
	s_wait_loadcnt 0x7
	v_mul_f32_e32 v142, v43, v124
	s_wait_loadcnt_dscnt 0x602
	v_dual_mul_f32 v122, v42, v124 :: v_dual_mul_f32 v143, v49, v126
	v_mul_f32_e32 v124, v48, v126
	s_wait_loadcnt_dscnt 0x501
	v_mul_f32_e32 v144, v53, v128
	s_wait_loadcnt 0x4
	v_dual_mul_f32 v126, v52, v128 :: v_dual_mul_f32 v145, v51, v130
	v_mul_f32_e32 v128, v50, v130
	v_fmac_f32_e32 v124, v49, v125
	s_wait_loadcnt 0x3
	v_mul_f32_e32 v146, v55, v132
	s_wait_loadcnt_dscnt 0x200
	v_dual_mul_f32 v130, v54, v132 :: v_dual_mul_f32 v147, v57, v134
	v_fmac_f32_e32 v120, v47, v121
	v_mul_f32_e32 v132, v56, v134
	s_wait_loadcnt 0x1
	v_mul_f32_e32 v148, v45, v136
	s_wait_loadcnt 0x0
	v_dual_mul_f32 v134, v44, v136 :: v_dual_mul_f32 v149, v59, v138
	v_fmac_f32_e32 v126, v53, v127
	v_mul_f32_e32 v136, v58, v138
	v_fma_f32 v138, v40, v119, -v140
	v_dual_fmac_f32 v139, v41, v119 :: v_dual_fmac_f32 v128, v51, v129
	v_fma_f32 v119, v46, v121, -v141
	v_fma_f32 v121, v42, v123, -v142
	v_fmac_f32_e32 v122, v43, v123
	v_fma_f32 v123, v48, v125, -v143
	v_fma_f32 v125, v52, v127, -v144
	;; [unrolled: 1-line block ×4, first 2 shown]
	v_fmac_f32_e32 v130, v55, v131
	v_fma_f32 v131, v56, v133, -v147
	v_fmac_f32_e32 v132, v57, v133
	v_fma_f32 v133, v44, v135, -v148
	;; [unrolled: 2-line block ×3, first 2 shown]
	v_fmac_f32_e32 v136, v59, v137
	ds_store_2addr_b64 v92, v[138:139], v[121:122] offset1:88
	ds_store_2addr_b64 v118, v[123:124], v[127:128] offset0:60 offset1:148
	ds_store_2addr_b64 v115, v[125:126], v[129:130] offset0:48 offset1:136
	;; [unrolled: 1-line block ×4, first 2 shown]
	s_and_saveexec_b32 s2, vcc_lo
	s_cbranch_execz .LBB0_17
; %bb.16:
	s_wait_alu 0xfffe
	v_add_co_u32 v40, s0, s0, v94
	s_wait_alu 0xf1ff
	v_add_co_ci_u32_e64 v41, null, s1, 0, s0
	s_clause 0x1
	global_load_b64 v[42:43], v[40:41], off offset:3520
	global_load_b64 v[40:41], v[40:41], off offset:7392
	ds_load_b64 v[44:45], v92 offset:3520
	ds_load_b64 v[46:47], v92 offset:7392
	s_wait_loadcnt_dscnt 0x101
	v_mul_f32_e32 v48, v45, v43
	s_wait_loadcnt_dscnt 0x0
	v_dual_mul_f32 v49, v44, v43 :: v_dual_mul_f32 v50, v47, v41
	v_mul_f32_e32 v43, v46, v41
	s_delay_alu instid0(VALU_DEP_3) | instskip(NEXT) | instid1(VALU_DEP_3)
	v_fma_f32 v48, v44, v42, -v48
	v_fmac_f32_e32 v49, v45, v42
	s_delay_alu instid0(VALU_DEP_4) | instskip(NEXT) | instid1(VALU_DEP_4)
	v_fma_f32 v42, v46, v40, -v50
	v_fmac_f32_e32 v43, v47, v40
	ds_store_b64 v92, v[48:49] offset:3520
	ds_store_b64 v92, v[42:43] offset:7392
.LBB0_17:
	s_wait_alu 0xfffe
	s_or_b32 exec_lo, exec_lo, s2
	global_wb scope:SCOPE_SE
	s_wait_dscnt 0x0
	s_barrier_signal -1
	s_barrier_wait -1
	global_inv scope:SCOPE_SE
	ds_load_2addr_b64 v[48:51], v92 offset1:88
	ds_load_2addr_b64 v[40:43], v116 offset0:96 offset1:228
	ds_load_2addr_b64 v[56:59], v118 offset0:60 offset1:148
	;; [unrolled: 1-line block ×4, first 2 shown]
	s_and_saveexec_b32 s0, vcc_lo
	s_cbranch_execz .LBB0_19
; %bb.18:
	ds_load_b64 v[62:63], v92 offset:3520
	ds_load_b64 v[60:61], v92 offset:7392
.LBB0_19:
	s_wait_alu 0xfffe
	s_or_b32 exec_lo, exec_lo, s0
	s_wait_dscnt 0x3
	v_dual_sub_f32 v117, v48, v42 :: v_dual_sub_f32 v118, v49, v43
	s_wait_dscnt 0x2
	v_dual_sub_f32 v121, v50, v56 :: v_dual_sub_f32 v122, v51, v57
	;; [unrolled: 2-line block ×3, first 2 shown]
	v_fma_f32 v115, v48, 2.0, -v117
	v_fma_f32 v116, v49, 2.0, -v118
	v_dual_sub_f32 v48, v46, v52 :: v_dual_sub_f32 v49, v47, v53
	v_dual_sub_f32 v52, v40, v54 :: v_dual_sub_f32 v53, v41, v55
	;; [unrolled: 1-line block ×3, first 2 shown]
	v_fma_f32 v119, v50, 2.0, -v121
	v_fma_f32 v120, v51, 2.0, -v122
	s_delay_alu instid0(VALU_DEP_4)
	v_fma_f32 v50, v40, 2.0, -v52
	v_fma_f32 v51, v41, 2.0, -v53
	;; [unrolled: 1-line block ×8, first 2 shown]
	global_wb scope:SCOPE_SE
	s_barrier_signal -1
	s_barrier_wait -1
	global_inv scope:SCOPE_SE
	ds_store_b128 v98, v[115:118]
	ds_store_b128 v103, v[119:122]
	;; [unrolled: 1-line block ×5, first 2 shown]
	s_and_saveexec_b32 s0, vcc_lo
	s_cbranch_execz .LBB0_21
; %bb.20:
	ds_store_b128 v99, v[40:43]
.LBB0_21:
	s_wait_alu 0xfffe
	s_or_b32 exec_lo, exec_lo, s0
	v_add_nc_u32_e32 v44, 0x800, v92
	v_add_nc_u32_e32 v48, 0x1000, v92
	;; [unrolled: 1-line block ×4, first 2 shown]
	global_wb scope:SCOPE_SE
	s_wait_dscnt 0x0
	s_barrier_signal -1
	s_barrier_wait -1
	global_inv scope:SCOPE_SE
	ds_load_2addr_b64 v[52:55], v92 offset1:88
	ds_load_2addr_b64 v[44:47], v44 offset0:96 offset1:228
	ds_load_2addr_b64 v[60:63], v48 offset0:60 offset1:148
	;; [unrolled: 1-line block ×4, first 2 shown]
	s_and_saveexec_b32 s0, vcc_lo
	s_cbranch_execz .LBB0_23
; %bb.22:
	ds_load_b64 v[40:41], v92 offset:3520
	ds_load_b64 v[42:43], v92 offset:7392
.LBB0_23:
	s_wait_alu 0xfffe
	s_or_b32 exec_lo, exec_lo, s0
	s_wait_dscnt 0x0
	v_mul_f32_e32 v101, v88, v43
	v_mul_f32_e32 v100, v88, v60
	;; [unrolled: 1-line block ×4, first 2 shown]
	s_delay_alu instid0(VALU_DEP_4) | instskip(NEXT) | instid1(VALU_DEP_4)
	v_dual_mul_f32 v94, v88, v47 :: v_dual_fmac_f32 v101, v87, v42
	v_fma_f32 v61, v87, v61, -v100
	v_mul_f32_e32 v100, v88, v56
	v_fma_f32 v47, v87, v47, -v98
	v_fmac_f32_e32 v99, v87, v60
	v_fmac_f32_e32 v94, v87, v46
	v_mul_f32_e32 v60, v88, v63
	v_fma_f32 v100, v87, v57, -v100
	v_mul_f32_e32 v98, v88, v57
	v_mul_f32_e32 v46, v88, v62
	;; [unrolled: 1-line block ×3, first 2 shown]
	v_sub_f32_e32 v47, v53, v47
	global_wb scope:SCOPE_SE
	v_fmac_f32_e32 v98, v87, v56
	v_fma_f32 v63, v87, v63, -v46
	v_sub_f32_e32 v46, v52, v94
	v_fma_f32 v94, v87, v43, -v57
	v_fma_f32 v43, v53, 2.0, -v47
	v_sub_f32_e32 v53, v55, v61
	v_fmac_f32_e32 v60, v87, v62
	v_mul_f32_e32 v62, v88, v59
	v_mul_f32_e32 v56, v88, v58
	v_fma_f32 v42, v52, 2.0, -v46
	v_sub_f32_e32 v57, v49, v63
	v_sub_f32_e32 v63, v41, v94
	v_fmac_f32_e32 v62, v87, v58
	v_fma_f32 v88, v87, v59, -v56
	v_sub_f32_e32 v52, v54, v99
	v_sub_f32_e32 v56, v48, v60
	;; [unrolled: 1-line block ×4, first 2 shown]
	v_dual_sub_f32 v62, v40, v101 :: v_dual_sub_f32 v59, v51, v100
	v_sub_f32_e32 v88, v45, v88
	v_fma_f32 v61, v41, 2.0, -v63
	v_fma_f32 v54, v54, 2.0, -v52
	s_delay_alu instid0(VALU_DEP_4)
	v_fma_f32 v60, v40, 2.0, -v62
	v_fma_f32 v55, v55, 2.0, -v53
	;; [unrolled: 1-line block ×8, first 2 shown]
	s_barrier_signal -1
	s_barrier_wait -1
	global_inv scope:SCOPE_SE
	ds_store_2addr_b64 v108, v[42:43], v[46:47] offset1:2
	ds_store_2addr_b64 v107, v[54:55], v[52:53] offset1:2
	;; [unrolled: 1-line block ×5, first 2 shown]
	s_and_saveexec_b32 s0, vcc_lo
	s_cbranch_execz .LBB0_25
; %bb.24:
	v_and_or_b32 v40, 0x3fc, v95, v96
	s_delay_alu instid0(VALU_DEP_1)
	v_lshl_add_u32 v40, v40, 3, v93
	ds_store_2addr_b64 v40, v[60:61], v[62:63] offset1:2
.LBB0_25:
	s_wait_alu 0xfffe
	s_or_b32 exec_lo, exec_lo, s0
	v_add_nc_u32_e32 v40, 0x800, v92
	v_add_nc_u32_e32 v44, 0x1000, v92
	;; [unrolled: 1-line block ×4, first 2 shown]
	global_wb scope:SCOPE_SE
	s_wait_dscnt 0x0
	s_barrier_signal -1
	s_barrier_wait -1
	global_inv scope:SCOPE_SE
	ds_load_2addr_b64 v[48:51], v92 offset1:88
	ds_load_2addr_b64 v[40:43], v40 offset0:96 offset1:228
	ds_load_2addr_b64 v[56:59], v44 offset0:60 offset1:148
	;; [unrolled: 1-line block ×4, first 2 shown]
	s_and_saveexec_b32 s0, vcc_lo
	s_cbranch_execz .LBB0_27
; %bb.26:
	ds_load_b64 v[60:61], v92 offset:3520
	ds_load_b64 v[62:63], v92 offset:7392
.LBB0_27:
	s_wait_alu 0xfffe
	s_or_b32 exec_lo, exec_lo, s0
	s_wait_dscnt 0x2
	v_mul_f32_e32 v94, v90, v57
	v_mul_f32_e32 v96, v90, v56
	;; [unrolled: 1-line block ×3, first 2 shown]
	global_wb scope:SCOPE_SE
	s_wait_dscnt 0x0
	s_barrier_signal -1
	v_fmac_f32_e32 v94, v89, v56
	v_fma_f32 v56, v89, v57, -v96
	v_dual_mul_f32 v98, v90, v59 :: v_dual_fmac_f32 v87, v89, v42
	v_mul_f32_e32 v96, v90, v54
	v_mul_f32_e32 v57, v90, v53
	;; [unrolled: 1-line block ×4, first 2 shown]
	v_fmac_f32_e32 v98, v89, v58
	s_barrier_wait -1
	v_fmac_f32_e32 v57, v89, v52
	v_fma_f32 v43, v89, v43, -v88
	v_fma_f32 v59, v89, v59, -v42
	v_sub_f32_e32 v42, v48, v87
	v_fma_f32 v87, v89, v55, -v96
	v_mul_f32_e32 v58, v90, v52
	v_mul_f32_e32 v88, v90, v55
	v_sub_f32_e32 v55, v45, v59
	v_sub_f32_e32 v43, v49, v43
	;; [unrolled: 1-line block ×3, first 2 shown]
	v_fma_f32 v58, v89, v53, -v58
	v_dual_sub_f32 v53, v51, v56 :: v_dual_sub_f32 v56, v46, v57
	v_sub_f32_e32 v52, v50, v94
	v_fma_f32 v48, v48, 2.0, -v42
	s_delay_alu instid0(VALU_DEP_4)
	v_sub_f32_e32 v57, v47, v58
	v_fmac_f32_e32 v88, v89, v54
	v_sub_f32_e32 v54, v44, v98
	v_fma_f32 v49, v49, 2.0, -v43
	v_fma_f32 v50, v50, 2.0, -v52
	;; [unrolled: 1-line block ×3, first 2 shown]
	v_sub_f32_e32 v58, v40, v88
	v_fma_f32 v44, v44, 2.0, -v54
	v_fma_f32 v45, v45, 2.0, -v55
	;; [unrolled: 1-line block ×6, first 2 shown]
	global_inv scope:SCOPE_SE
	ds_store_2addr_b64 v113, v[48:49], v[42:43] offset1:4
	ds_store_2addr_b64 v112, v[50:51], v[52:53] offset1:4
	;; [unrolled: 1-line block ×5, first 2 shown]
	s_and_saveexec_b32 s0, vcc_lo
	s_cbranch_execz .LBB0_29
; %bb.28:
	v_mul_f32_e32 v40, v90, v62
	v_and_or_b32 v44, 0x3f8, v95, v97
	s_delay_alu instid0(VALU_DEP_2) | instskip(SKIP_1) | instid1(VALU_DEP_3)
	v_fma_f32 v40, v89, v63, -v40
	v_mul_f32_e32 v42, v90, v63
	v_lshl_add_u32 v44, v44, 3, v93
	s_delay_alu instid0(VALU_DEP_3) | instskip(NEXT) | instid1(VALU_DEP_3)
	v_sub_f32_e32 v41, v61, v40
	v_fmac_f32_e32 v42, v89, v62
	s_delay_alu instid0(VALU_DEP_2) | instskip(NEXT) | instid1(VALU_DEP_2)
	v_fma_f32 v43, v61, 2.0, -v41
	v_sub_f32_e32 v40, v60, v42
	s_delay_alu instid0(VALU_DEP_1)
	v_fma_f32 v42, v60, 2.0, -v40
	ds_store_2addr_b64 v44, v[42:43], v[40:41] offset1:4
.LBB0_29:
	s_wait_alu 0xfffe
	s_or_b32 exec_lo, exec_lo, s0
	global_wb scope:SCOPE_SE
	s_wait_dscnt 0x0
	s_barrier_signal -1
	s_barrier_wait -1
	global_inv scope:SCOPE_SE
	ds_load_2addr_b64 v[44:47], v92 offset1:88
	v_add_nc_u32_e32 v41, 0x400, v92
	v_add_nc_u32_e32 v43, 0x800, v92
	ds_load_2addr_b64 v[48:51], v41 offset0:48 offset1:136
	ds_load_2addr_b64 v[52:55], v43 offset0:96 offset1:184
	v_add_nc_u32_e32 v42, 0x1000, v92
	v_add_nc_u32_e32 v40, 0x1400, v92
	s_mov_b32 s2, 0x6be69c90
	s_mov_b32 s3, 0x3f50ecf5
	s_wait_dscnt 0x2
	v_mul_f32_e32 v89, v17, v47
	v_mul_f32_e32 v17, v17, v46
	ds_load_2addr_b64 v[56:59], v42 offset0:16 offset1:104
	ds_load_b64 v[87:88], v92 offset:7040
	ds_load_2addr_b64 v[60:63], v40 offset0:64 offset1:152
	global_wb scope:SCOPE_SE
	s_wait_dscnt 0x0
	v_fmac_f32_e32 v89, v16, v46
	v_fma_f32 v16, v16, v47, -v17
	v_dual_mul_f32 v46, v13, v51 :: v_dual_mul_f32 v17, v19, v49
	v_mul_f32_e32 v47, v15, v53
	v_mul_f32_e32 v13, v13, v50
	v_dual_mul_f32 v90, v5, v55 :: v_dual_mul_f32 v19, v19, v48
	s_delay_alu instid0(VALU_DEP_4) | instskip(NEXT) | instid1(VALU_DEP_4)
	v_dual_fmac_f32 v46, v12, v50 :: v_dual_fmac_f32 v17, v18, v48
	v_fmac_f32_e32 v47, v14, v52
	s_delay_alu instid0(VALU_DEP_4) | instskip(NEXT) | instid1(VALU_DEP_4)
	v_fma_f32 v12, v12, v51, -v13
	v_fmac_f32_e32 v90, v4, v54
	v_fma_f32 v18, v18, v49, -v19
	v_add_f32_e32 v19, v45, v16
	s_barrier_signal -1
	s_barrier_wait -1
	global_inv scope:SCOPE_SE
	v_mul_f32_e32 v48, v3, v61
	v_mul_f32_e32 v15, v15, v52
	s_delay_alu instid0(VALU_DEP_2) | instskip(NEXT) | instid1(VALU_DEP_2)
	v_dual_mul_f32 v5, v5, v54 :: v_dual_fmac_f32 v48, v2, v60
	v_fma_f32 v13, v14, v53, -v15
	v_mul_f32_e32 v14, v7, v57
	v_add_f32_e32 v15, v44, v89
	s_delay_alu instid0(VALU_DEP_4) | instskip(SKIP_1) | instid1(VALU_DEP_3)
	v_fma_f32 v4, v4, v55, -v5
	v_mul_f32_e32 v5, v7, v56
	v_dual_fmac_f32 v14, v6, v56 :: v_dual_add_f32 v7, v15, v17
	v_add_f32_e32 v15, v19, v18
	v_mul_f32_e32 v19, v1, v59
	v_mul_f32_e32 v1, v1, v58
	v_fma_f32 v5, v6, v57, -v5
	v_add_f32_e32 v6, v7, v46
	v_add_f32_e32 v7, v15, v12
	v_fmac_f32_e32 v19, v0, v58
	v_fma_f32 v15, v0, v59, -v1
	s_delay_alu instid0(VALU_DEP_4) | instskip(SKIP_1) | instid1(VALU_DEP_2)
	v_add_f32_e32 v0, v6, v47
	v_mul_f32_e32 v6, v9, v63
	v_add_f32_e32 v0, v0, v90
	s_delay_alu instid0(VALU_DEP_2) | instskip(NEXT) | instid1(VALU_DEP_2)
	v_fmac_f32_e32 v6, v8, v62
	v_add_f32_e32 v0, v0, v14
	s_delay_alu instid0(VALU_DEP_1) | instskip(NEXT) | instid1(VALU_DEP_1)
	v_add_f32_e32 v0, v0, v19
	v_add_f32_e32 v0, v0, v48
	s_delay_alu instid0(VALU_DEP_1) | instskip(SKIP_1) | instid1(VALU_DEP_1)
	v_dual_add_f32 v0, v0, v6 :: v_dual_add_f32 v1, v7, v13
	v_mul_f32_e32 v7, v11, v88
	v_fmac_f32_e32 v7, v10, v87
	s_delay_alu instid0(VALU_DEP_1) | instskip(SKIP_1) | instid1(VALU_DEP_1)
	v_sub_f32_e32 v49, v89, v7
	v_mul_f32_e32 v3, v3, v60
	v_fma_f32 v2, v2, v61, -v3
	v_mul_f32_e32 v3, v11, v87
	s_delay_alu instid0(VALU_DEP_1) | instskip(NEXT) | instid1(VALU_DEP_1)
	v_fma_f32 v3, v10, v88, -v3
	v_add_f32_e32 v11, v16, v3
	s_delay_alu instid0(VALU_DEP_1) | instskip(NEXT) | instid1(VALU_DEP_1)
	v_dual_mul_f32 v9, v9, v62 :: v_dual_mul_f32 v56, 0xbe11bafb, v11
	v_fma_f32 v8, v8, v63, -v9
	s_delay_alu instid0(VALU_DEP_2) | instskip(SKIP_3) | instid1(VALU_DEP_4)
	v_dual_sub_f32 v9, v16, v3 :: v_dual_fmamk_f32 v58, v49, 0x3f7d64f0, v56
	v_fmac_f32_e32 v56, 0xbf7d64f0, v49
	v_add_f32_e32 v10, v89, v7
	v_dual_add_f32 v0, v0, v7 :: v_dual_add_f32 v1, v1, v4
	v_mul_f32_e32 v16, 0xbf0a6770, v9
	v_mul_f32_e32 v54, 0xbf7d64f0, v9
	v_add_f32_e32 v58, v45, v58
	s_delay_alu instid0(VALU_DEP_4) | instskip(NEXT) | instid1(VALU_DEP_4)
	v_dual_mul_f32 v60, 0xbf27a4f4, v11 :: v_dual_add_f32 v1, v1, v5
	v_dual_fmamk_f32 v51, v10, 0x3f575c64, v16 :: v_dual_add_f32 v56, v45, v56
	s_delay_alu instid0(VALU_DEP_4) | instskip(SKIP_1) | instid1(VALU_DEP_4)
	v_fmamk_f32 v57, v10, 0xbe11bafb, v54
	v_fma_f32 v54, 0xbe11bafb, v10, -v54
	v_add_f32_e32 v1, v1, v15
	v_sub_f32_e32 v87, v18, v8
	v_mul_f32_e32 v59, 0xbf4178ce, v9
	v_mul_f32_e32 v50, 0x3f575c64, v11
	v_add_f32_e32 v54, v44, v54
	v_add_f32_e32 v1, v1, v2
	v_fma_f32 v16, 0x3f575c64, v10, -v16
	s_delay_alu instid0(VALU_DEP_2) | instskip(SKIP_2) | instid1(VALU_DEP_3)
	v_add_f32_e32 v1, v1, v8
	v_dual_add_f32 v8, v18, v8 :: v_dual_add_f32 v51, v44, v51
	v_fmamk_f32 v62, v49, 0x3f4178ce, v60
	v_dual_fmac_f32 v60, 0xbf4178ce, v49 :: v_dual_add_f32 v1, v1, v3
	v_mul_f32_e32 v3, 0xbf68dda4, v9
	v_mul_f32_e32 v53, 0x3ed4b147, v11
	s_delay_alu instid0(VALU_DEP_4) | instskip(SKIP_1) | instid1(VALU_DEP_4)
	v_dual_mul_f32 v9, 0xbe903f40, v9 :: v_dual_add_f32 v62, v45, v62
	v_fmamk_f32 v61, v10, 0xbf27a4f4, v59
	v_fmamk_f32 v52, v10, 0x3ed4b147, v3
	v_fma_f32 v3, 0x3ed4b147, v10, -v3
	v_fma_f32 v59, 0xbf27a4f4, v10, -v59
	v_dual_fmamk_f32 v63, v10, 0xbf75a155, v9 :: v_dual_add_f32 v60, v45, v60
	s_delay_alu instid0(VALU_DEP_4) | instskip(SKIP_4) | instid1(VALU_DEP_4)
	v_dual_add_f32 v52, v44, v52 :: v_dual_fmamk_f32 v55, v49, 0x3f68dda4, v53
	v_fmac_f32_e32 v53, 0xbf68dda4, v49
	v_fma_f32 v9, 0xbf75a155, v10, -v9
	v_dual_add_f32 v10, v17, v6 :: v_dual_mul_f32 v11, 0xbf75a155, v11
	v_add_f32_e32 v3, v44, v3
	v_dual_add_f32 v53, v45, v53 :: v_dual_mul_f32 v18, 0xbf68dda4, v87
	v_add_f32_e32 v16, v44, v16
	s_delay_alu instid0(VALU_DEP_4) | instskip(SKIP_3) | instid1(VALU_DEP_4)
	v_fmamk_f32 v88, v49, 0x3e903f40, v11
	v_fmamk_f32 v7, v49, 0x3f0a6770, v50
	v_dual_fmac_f32 v50, 0xbf0a6770, v49 :: v_dual_add_f32 v55, v45, v55
	v_dual_fmac_f32 v11, 0xbe903f40, v49 :: v_dual_sub_f32 v6, v17, v6
	v_dual_add_f32 v49, v45, v88 :: v_dual_fmamk_f32 v88, v10, 0x3ed4b147, v18
	v_fma_f32 v18, 0x3ed4b147, v10, -v18
	s_delay_alu instid0(VALU_DEP_4) | instskip(SKIP_1) | instid1(VALU_DEP_4)
	v_dual_add_f32 v50, v45, v50 :: v_dual_add_f32 v63, v44, v63
	v_add_f32_e32 v9, v44, v9
	v_dual_add_f32 v51, v88, v51 :: v_dual_mul_f32 v88, 0xbf27a4f4, v8
	s_delay_alu instid0(VALU_DEP_4)
	v_dual_add_f32 v61, v44, v61 :: v_dual_add_f32 v16, v18, v16
	v_mul_f32_e32 v18, 0x3e903f40, v87
	v_mul_f32_e32 v17, 0x3ed4b147, v8
	v_add_f32_e32 v7, v45, v7
	v_add_f32_e32 v59, v44, v59
	;; [unrolled: 1-line block ×3, first 2 shown]
	v_mul_f32_e32 v45, 0xbf4178ce, v87
	v_dual_add_f32 v57, v44, v57 :: v_dual_fmamk_f32 v44, v6, 0x3f68dda4, v17
	v_fmac_f32_e32 v17, 0xbf68dda4, v6
	v_mul_f32_e32 v89, 0xbf75a155, v8
	s_delay_alu instid0(VALU_DEP_3) | instskip(NEXT) | instid1(VALU_DEP_1)
	v_dual_add_f32 v7, v44, v7 :: v_dual_fmamk_f32 v44, v10, 0xbf27a4f4, v45
	v_add_f32_e32 v44, v44, v52
	v_fmamk_f32 v52, v10, 0xbf75a155, v18
	v_fma_f32 v18, 0xbf75a155, v10, -v18
	s_delay_alu instid0(VALU_DEP_2) | instskip(NEXT) | instid1(VALU_DEP_2)
	v_dual_add_f32 v52, v52, v57 :: v_dual_mul_f32 v57, 0xbe11bafb, v8
	v_add_f32_e32 v18, v18, v54
	v_mul_f32_e32 v8, 0x3f575c64, v8
	s_delay_alu instid0(VALU_DEP_3) | instskip(NEXT) | instid1(VALU_DEP_1)
	v_fmamk_f32 v54, v6, 0xbf7d64f0, v57
	v_add_f32_e32 v54, v54, v62
	v_dual_add_f32 v62, v46, v48 :: v_dual_add_f32 v17, v17, v50
	v_fmamk_f32 v50, v6, 0x3f4178ce, v88
	v_fma_f32 v45, 0xbf27a4f4, v10, -v45
	v_fmac_f32_e32 v88, 0xbf4178ce, v6
	s_delay_alu instid0(VALU_DEP_3) | instskip(NEXT) | instid1(VALU_DEP_3)
	v_add_f32_e32 v50, v50, v55
	v_add_f32_e32 v3, v45, v3
	s_delay_alu instid0(VALU_DEP_3) | instskip(SKIP_4) | instid1(VALU_DEP_3)
	v_add_f32_e32 v45, v88, v53
	v_fmamk_f32 v53, v6, 0xbe903f40, v89
	v_mul_f32_e32 v55, 0x3f7d64f0, v87
	v_mul_f32_e32 v87, 0x3f0a6770, v87
	v_fmac_f32_e32 v57, 0x3f7d64f0, v6
	v_dual_add_f32 v53, v53, v58 :: v_dual_fmamk_f32 v58, v10, 0xbe11bafb, v55
	v_fma_f32 v55, 0xbe11bafb, v10, -v55
	s_delay_alu instid0(VALU_DEP_2) | instskip(SKIP_1) | instid1(VALU_DEP_3)
	v_add_f32_e32 v58, v58, v61
	v_fmamk_f32 v61, v10, 0x3f575c64, v87
	v_add_f32_e32 v55, v55, v59
	v_sub_f32_e32 v59, v12, v2
	v_dual_add_f32 v2, v12, v2 :: v_dual_add_f32 v57, v57, v60
	s_delay_alu instid0(VALU_DEP_4) | instskip(NEXT) | instid1(VALU_DEP_3)
	v_dual_add_f32 v60, v61, v63 :: v_dual_fmamk_f32 v61, v6, 0xbf0a6770, v8
	v_mul_f32_e32 v63, 0xbf7d64f0, v59
	v_fma_f32 v10, 0x3f575c64, v10, -v87
	v_fmac_f32_e32 v8, 0x3f0a6770, v6
	s_delay_alu instid0(VALU_DEP_3) | instskip(SKIP_4) | instid1(VALU_DEP_4)
	v_fmamk_f32 v12, v62, 0xbe11bafb, v63
	v_dual_fmac_f32 v89, 0x3e903f40, v6 :: v_dual_sub_f32 v6, v46, v48
	v_mul_f32_e32 v46, 0xbe11bafb, v2
	v_add_f32_e32 v48, v61, v49
	v_add_f32_e32 v8, v8, v11
	v_dual_add_f32 v56, v89, v56 :: v_dual_add_f32 v9, v10, v9
	s_delay_alu instid0(VALU_DEP_4)
	v_dual_add_f32 v10, v12, v51 :: v_dual_fmamk_f32 v11, v6, 0x3f7d64f0, v46
	v_mul_f32_e32 v12, 0x3e903f40, v59
	v_fma_f32 v49, 0xbe11bafb, v62, -v63
	v_fmac_f32_e32 v46, 0xbf7d64f0, v6
	v_mul_f32_e32 v51, 0xbf75a155, v2
	v_add_f32_e32 v7, v11, v7
	s_delay_alu instid0(VALU_DEP_4) | instskip(NEXT) | instid1(VALU_DEP_4)
	v_dual_fmamk_f32 v11, v62, 0xbf75a155, v12 :: v_dual_add_f32 v16, v49, v16
	v_add_f32_e32 v17, v46, v17
	s_delay_alu instid0(VALU_DEP_4)
	v_fmamk_f32 v46, v6, 0xbe903f40, v51
	v_mul_f32_e32 v49, 0x3f68dda4, v59
	v_fma_f32 v12, 0xbf75a155, v62, -v12
	v_fmac_f32_e32 v51, 0x3e903f40, v6
	v_mul_f32_e32 v61, 0x3f575c64, v2
	v_dual_add_f32 v11, v11, v44 :: v_dual_add_f32 v44, v46, v50
	v_fmamk_f32 v46, v62, 0x3ed4b147, v49
	v_dual_mul_f32 v50, 0x3ed4b147, v2 :: v_dual_add_f32 v3, v12, v3
	v_dual_add_f32 v12, v51, v45 :: v_dual_mul_f32 v45, 0xbf0a6770, v59
	s_delay_alu instid0(VALU_DEP_3) | instskip(NEXT) | instid1(VALU_DEP_3)
	v_add_f32_e32 v46, v46, v52
	v_fmamk_f32 v51, v6, 0xbf68dda4, v50
	v_fma_f32 v49, 0x3ed4b147, v62, -v49
	v_fmac_f32_e32 v50, 0x3f68dda4, v6
	v_fmamk_f32 v52, v62, 0x3f575c64, v45
	v_mul_f32_e32 v2, 0xbf27a4f4, v2
	v_fma_f32 v45, 0x3f575c64, v62, -v45
	s_delay_alu instid0(VALU_DEP_4) | instskip(NEXT) | instid1(VALU_DEP_4)
	v_dual_add_f32 v18, v49, v18 :: v_dual_add_f32 v49, v50, v56
	v_add_f32_e32 v50, v52, v58
	v_fmamk_f32 v52, v6, 0x3f0a6770, v61
	v_fmac_f32_e32 v61, 0xbf0a6770, v6
	v_dual_fmamk_f32 v56, v6, 0x3f4178ce, v2 :: v_dual_add_f32 v45, v45, v55
	v_fmac_f32_e32 v2, 0xbf4178ce, v6
	s_delay_alu instid0(VALU_DEP_3) | instskip(NEXT) | instid1(VALU_DEP_3)
	v_dual_sub_f32 v6, v47, v19 :: v_dual_add_f32 v55, v61, v57
	v_dual_sub_f32 v57, v13, v15 :: v_dual_add_f32 v48, v56, v48
	v_add_f32_e32 v56, v47, v19
	v_add_f32_e32 v51, v51, v53
	v_mul_f32_e32 v53, 0xbf4178ce, v59
	v_add_f32_e32 v13, v13, v15
	v_dual_mul_f32 v15, 0xbf4178ce, v57 :: v_dual_add_f32 v52, v52, v54
	v_add_f32_e32 v2, v2, v8
	s_delay_alu instid0(VALU_DEP_4) | instskip(SKIP_1) | instid1(VALU_DEP_4)
	v_fmamk_f32 v54, v62, 0xbf27a4f4, v53
	v_fma_f32 v53, 0xbf27a4f4, v62, -v53
	v_fmamk_f32 v47, v56, 0xbf27a4f4, v15
	v_mul_f32_e32 v8, 0x3f7d64f0, v57
	v_mul_f32_e32 v19, 0xbf27a4f4, v13
	v_fma_f32 v15, 0xbf27a4f4, v56, -v15
	v_dual_add_f32 v54, v54, v60 :: v_dual_add_f32 v9, v53, v9
	s_delay_alu instid0(VALU_DEP_3) | instskip(SKIP_1) | instid1(VALU_DEP_4)
	v_dual_add_f32 v10, v47, v10 :: v_dual_fmamk_f32 v53, v6, 0x3f4178ce, v19
	v_fmamk_f32 v47, v56, 0xbe11bafb, v8
	v_add_f32_e32 v15, v15, v16
	v_fmac_f32_e32 v19, 0xbf4178ce, v6
	v_fma_f32 v8, 0xbe11bafb, v56, -v8
	s_delay_alu instid0(VALU_DEP_4) | instskip(SKIP_1) | instid1(VALU_DEP_4)
	v_add_f32_e32 v11, v47, v11
	v_mul_f32_e32 v47, 0x3f575c64, v13
	v_add_f32_e32 v16, v19, v17
	s_delay_alu instid0(VALU_DEP_4) | instskip(NEXT) | instid1(VALU_DEP_3)
	v_dual_mul_f32 v17, 0xbf0a6770, v57 :: v_dual_add_f32 v8, v8, v3
	v_fmamk_f32 v3, v6, 0x3f0a6770, v47
	s_delay_alu instid0(VALU_DEP_2) | instskip(SKIP_1) | instid1(VALU_DEP_3)
	v_fmamk_f32 v58, v56, 0x3f575c64, v17
	v_fma_f32 v17, 0x3f575c64, v56, -v17
	v_add_f32_e32 v51, v3, v51
	s_delay_alu instid0(VALU_DEP_2) | instskip(SKIP_1) | instid1(VALU_DEP_1)
	v_add_f32_e32 v17, v17, v18
	v_fmac_f32_e32 v47, 0xbf0a6770, v6
	v_dual_add_f32 v18, v47, v49 :: v_dual_add_f32 v7, v53, v7
	v_mul_f32_e32 v53, 0xbe11bafb, v13
	v_mul_f32_e32 v47, 0x3f68dda4, v57
	s_delay_alu instid0(VALU_DEP_2) | instskip(NEXT) | instid1(VALU_DEP_1)
	v_fmamk_f32 v19, v6, 0xbf7d64f0, v53
	v_dual_add_f32 v19, v19, v44 :: v_dual_add_f32 v44, v58, v46
	v_fmac_f32_e32 v53, 0x3f7d64f0, v6
	v_mul_f32_e32 v46, 0xbe903f40, v57
	s_delay_alu instid0(VALU_DEP_1) | instskip(SKIP_1) | instid1(VALU_DEP_2)
	v_dual_add_f32 v12, v53, v12 :: v_dual_fmamk_f32 v53, v56, 0xbf75a155, v46
	v_fma_f32 v46, 0xbf75a155, v56, -v46
	v_dual_add_f32 v50, v53, v50 :: v_dual_mul_f32 v3, 0xbf75a155, v13
	v_fmamk_f32 v53, v56, 0x3ed4b147, v47
	v_mul_f32_e32 v13, 0x3ed4b147, v13
	s_delay_alu instid0(VALU_DEP_4) | instskip(SKIP_4) | instid1(VALU_DEP_2)
	v_add_f32_e32 v45, v46, v45
	v_fma_f32 v47, 0x3ed4b147, v56, -v47
	v_fmamk_f32 v49, v6, 0x3e903f40, v3
	v_fmac_f32_e32 v3, 0xbe903f40, v6
	v_sub_f32_e32 v56, v90, v14
	v_dual_add_f32 v46, v3, v55 :: v_dual_add_f32 v55, v90, v14
	s_delay_alu instid0(VALU_DEP_4) | instskip(SKIP_3) | instid1(VALU_DEP_3)
	v_add_f32_e32 v49, v49, v52
	v_dual_add_f32 v52, v53, v54 :: v_dual_sub_f32 v53, v4, v5
	v_dual_add_f32 v54, v4, v5 :: v_dual_fmamk_f32 v3, v6, 0xbf68dda4, v13
	v_fmac_f32_e32 v13, 0x3f68dda4, v6
	v_mul_f32_e32 v4, 0xbe903f40, v53
	s_delay_alu instid0(VALU_DEP_3) | instskip(SKIP_2) | instid1(VALU_DEP_4)
	v_dual_mul_f32 v5, 0xbf75a155, v54 :: v_dual_add_f32 v48, v3, v48
	v_add_f32_e32 v47, v47, v9
	v_mul_f32_e32 v9, 0x3f0a6770, v53
	v_fmamk_f32 v3, v55, 0xbf75a155, v4
	s_delay_alu instid0(VALU_DEP_4) | instskip(SKIP_1) | instid1(VALU_DEP_3)
	v_dual_fmamk_f32 v6, v56, 0x3e903f40, v5 :: v_dual_add_f32 v57, v13, v2
	v_mul_f32_e32 v13, 0xbf4178ce, v53
	v_dual_fmac_f32 v5, 0xbe903f40, v56 :: v_dual_add_f32 v2, v3, v10
	s_delay_alu instid0(VALU_DEP_3) | instskip(SKIP_2) | instid1(VALU_DEP_4)
	v_dual_add_f32 v3, v6, v7 :: v_dual_fmamk_f32 v6, v55, 0x3f575c64, v9
	v_mul_f32_e32 v10, 0x3f575c64, v54
	v_fma_f32 v9, 0x3f575c64, v55, -v9
	v_dual_mul_f32 v14, 0xbf27a4f4, v54 :: v_dual_add_f32 v5, v5, v16
	s_delay_alu instid0(VALU_DEP_3) | instskip(SKIP_1) | instid1(VALU_DEP_4)
	v_dual_add_f32 v6, v6, v11 :: v_dual_fmamk_f32 v7, v56, 0xbf0a6770, v10
	v_fmac_f32_e32 v10, 0x3f0a6770, v56
	v_dual_fmamk_f32 v11, v55, 0xbf27a4f4, v13 :: v_dual_add_f32 v8, v9, v8
	s_delay_alu instid0(VALU_DEP_3) | instskip(NEXT) | instid1(VALU_DEP_3)
	v_add_f32_e32 v7, v7, v19
	v_add_f32_e32 v9, v10, v12
	s_delay_alu instid0(VALU_DEP_3)
	v_add_f32_e32 v10, v11, v44
	v_mul_f32_e32 v44, 0xbf7d64f0, v53
	v_fma_f32 v4, 0xbf75a155, v55, -v4
	v_fmamk_f32 v11, v56, 0x3f4178ce, v14
	v_fmac_f32_e32 v14, 0xbf4178ce, v56
	v_fma_f32 v12, 0xbf27a4f4, v55, -v13
	s_delay_alu instid0(VALU_DEP_4) | instskip(SKIP_1) | instid1(VALU_DEP_3)
	v_dual_mul_f32 v19, 0x3ed4b147, v54 :: v_dual_add_f32 v4, v4, v15
	v_mul_f32_e32 v15, 0x3f68dda4, v53
	v_dual_add_f32 v13, v14, v18 :: v_dual_add_f32 v12, v12, v17
	s_delay_alu instid0(VALU_DEP_3) | instskip(SKIP_1) | instid1(VALU_DEP_4)
	v_fmamk_f32 v17, v56, 0xbf68dda4, v19
	v_fmac_f32_e32 v19, 0x3f68dda4, v56
	v_fmamk_f32 v16, v55, 0x3ed4b147, v15
	v_fma_f32 v18, 0x3ed4b147, v55, -v15
	v_add_f32_e32 v11, v11, v51
	v_add_f32_e32 v15, v17, v49
	;; [unrolled: 1-line block ×4, first 2 shown]
	v_mul_f32_e32 v50, 0xbe11bafb, v54
	v_add_f32_e32 v16, v18, v45
	v_fmamk_f32 v18, v55, 0xbe11bafb, v44
	v_fma_f32 v44, 0xbe11bafb, v55, -v44
	s_delay_alu instid0(VALU_DEP_4) | instskip(SKIP_1) | instid1(VALU_DEP_4)
	v_fmamk_f32 v45, v56, 0x3f7d64f0, v50
	v_fmac_f32_e32 v50, 0xbf7d64f0, v56
	v_add_f32_e32 v18, v18, v52
	s_delay_alu instid0(VALU_DEP_3) | instskip(NEXT) | instid1(VALU_DEP_3)
	v_dual_add_f32 v44, v44, v47 :: v_dual_add_f32 v19, v45, v48
	v_add_f32_e32 v45, v50, v57
	ds_store_2addr_b64 v114, v[0:1], v[2:3] offset1:8
	ds_store_2addr_b64 v114, v[6:7], v[10:11] offset0:16 offset1:24
	ds_store_2addr_b64 v114, v[14:15], v[18:19] offset0:32 offset1:40
	;; [unrolled: 1-line block ×4, first 2 shown]
	ds_store_b64 v114, v[4:5] offset:640
	global_wb scope:SCOPE_SE
	s_wait_dscnt 0x0
	s_barrier_signal -1
	s_barrier_wait -1
	global_inv scope:SCOPE_SE
	ds_load_2addr_b64 v[0:3], v92 offset1:88
	ds_load_2addr_b64 v[4:7], v41 offset0:48 offset1:136
	ds_load_2addr_b64 v[8:11], v43 offset0:96 offset1:184
	;; [unrolled: 1-line block ×4, first 2 shown]
	ds_load_b64 v[44:45], v92 offset:7040
	s_wait_dscnt 0x4
	v_dual_mul_f32 v46, v37, v3 :: v_dual_mul_f32 v47, v39, v5
	s_delay_alu instid0(VALU_DEP_1) | instskip(SKIP_1) | instid1(VALU_DEP_3)
	v_dual_mul_f32 v39, v39, v4 :: v_dual_fmac_f32 v46, v36, v2
	v_mul_f32_e32 v37, v37, v2
	v_dual_fmac_f32 v47, v38, v4 :: v_dual_mul_f32 v4, v33, v7
	s_delay_alu instid0(VALU_DEP_3) | instskip(NEXT) | instid1(VALU_DEP_3)
	v_fma_f32 v5, v38, v5, -v39
	v_fma_f32 v2, v36, v3, -v37
	v_mul_f32_e32 v3, v33, v6
	s_wait_dscnt 0x3
	v_mul_f32_e32 v33, v35, v9
	v_dual_mul_f32 v35, v35, v8 :: v_dual_fmac_f32 v4, v32, v6
	v_mul_f32_e32 v6, v25, v11
	v_fma_f32 v7, v32, v7, -v3
	s_delay_alu instid0(VALU_DEP_4) | instskip(NEXT) | instid1(VALU_DEP_4)
	v_fmac_f32_e32 v33, v34, v8
	v_fma_f32 v8, v34, v9, -v35
	v_mul_f32_e32 v3, v25, v10
	s_wait_dscnt 0x2
	v_dual_fmac_f32 v6, v24, v10 :: v_dual_mul_f32 v9, v27, v13
	v_add_f32_e32 v10, v0, v46
	v_add_f32_e32 v25, v1, v2
	v_fma_f32 v11, v24, v11, -v3
	v_mul_f32_e32 v3, v27, v12
	v_fmac_f32_e32 v9, v26, v12
	v_add_f32_e32 v10, v10, v47
	v_add_f32_e32 v12, v25, v5
	v_mul_f32_e32 v24, v21, v15
	v_fma_f32 v13, v26, v13, -v3
	s_delay_alu instid0(VALU_DEP_4) | instskip(NEXT) | instid1(VALU_DEP_4)
	v_dual_mul_f32 v3, v21, v14 :: v_dual_add_f32 v10, v10, v4
	v_add_f32_e32 v12, v12, v7
	s_delay_alu instid0(VALU_DEP_4)
	v_fmac_f32_e32 v24, v20, v14
	s_wait_dscnt 0x1
	v_mul_f32_e32 v14, v23, v17
	v_fma_f32 v15, v20, v15, -v3
	v_dual_add_f32 v3, v10, v33 :: v_dual_add_f32 v10, v12, v8
	v_mul_f32_e32 v12, v23, v16
	s_delay_alu instid0(VALU_DEP_4)
	v_fmac_f32_e32 v14, v22, v16
	v_mul_f32_e32 v16, v29, v19
	s_wait_dscnt 0x0
	v_mul_f32_e32 v20, v31, v45
	v_add_f32_e32 v10, v10, v11
	v_fma_f32 v12, v22, v17, -v12
	v_dual_mul_f32 v17, v31, v44 :: v_dual_fmac_f32 v16, v28, v18
	v_mul_f32_e32 v18, v29, v18
	v_fmac_f32_e32 v20, v30, v44
	v_add_f32_e32 v10, v10, v13
	s_delay_alu instid0(VALU_DEP_4) | instskip(NEXT) | instid1(VALU_DEP_4)
	v_fma_f32 v17, v30, v45, -v17
	v_fma_f32 v18, v28, v19, -v18
	s_delay_alu instid0(VALU_DEP_3) | instskip(NEXT) | instid1(VALU_DEP_3)
	v_add_f32_e32 v10, v10, v15
	v_sub_f32_e32 v21, v2, v17
	v_add_f32_e32 v23, v2, v17
	s_delay_alu instid0(VALU_DEP_4)
	v_sub_f32_e32 v45, v5, v18
	v_add_f32_e32 v19, v46, v20
	v_add_f32_e32 v10, v10, v12
	v_mul_f32_e32 v34, 0xbf4178ce, v21
	v_mul_f32_e32 v26, 0x3f575c64, v23
	;; [unrolled: 1-line block ×4, first 2 shown]
	s_delay_alu instid0(VALU_DEP_4) | instskip(SKIP_2) | instid1(VALU_DEP_3)
	v_dual_mul_f32 v37, 0xbf27a4f4, v23 :: v_dual_fmamk_f32 v36, v19, 0xbf27a4f4, v34
	v_fma_f32 v34, 0xbf27a4f4, v19, -v34
	v_mul_f32_e32 v23, 0xbf75a155, v23
	v_dual_add_f32 v5, v5, v18 :: v_dual_add_f32 v36, v0, v36
	s_delay_alu instid0(VALU_DEP_3) | instskip(SKIP_2) | instid1(VALU_DEP_2)
	v_add_f32_e32 v34, v0, v34
	v_mul_f32_e32 v30, 0xbf7d64f0, v21
	v_mul_f32_e32 v22, 0xbf0a6770, v21
	v_fmamk_f32 v31, v19, 0xbe11bafb, v30
	v_fma_f32 v30, 0xbe11bafb, v19, -v30
	s_delay_alu instid0(VALU_DEP_1) | instskip(SKIP_1) | instid1(VALU_DEP_1)
	v_add_f32_e32 v30, v0, v30
	v_add_f32_e32 v3, v3, v6
	;; [unrolled: 1-line block ×3, first 2 shown]
	s_delay_alu instid0(VALU_DEP_1) | instskip(NEXT) | instid1(VALU_DEP_1)
	v_add_f32_e32 v3, v3, v24
	v_add_f32_e32 v3, v3, v14
	s_delay_alu instid0(VALU_DEP_1) | instskip(SKIP_2) | instid1(VALU_DEP_3)
	v_dual_add_f32 v2, v3, v16 :: v_dual_add_f32 v3, v10, v18
	v_sub_f32_e32 v10, v46, v20
	v_mul_f32_e32 v18, 0xbf68dda4, v45
	v_dual_fmamk_f32 v25, v19, 0x3f575c64, v22 :: v_dual_add_f32 v2, v2, v20
	v_fma_f32 v22, 0x3f575c64, v19, -v22
	s_delay_alu instid0(VALU_DEP_4)
	v_fmamk_f32 v20, v10, 0x3f0a6770, v26
	v_fmac_f32_e32 v26, 0xbf0a6770, v10
	v_fmamk_f32 v44, v10, 0x3e903f40, v23
	v_fmamk_f32 v35, v10, 0x3f7d64f0, v32
	v_fmac_f32_e32 v32, 0xbf7d64f0, v10
	v_fmamk_f32 v38, v10, 0x3f4178ce, v37
	v_dual_add_f32 v26, v1, v26 :: v_dual_fmamk_f32 v29, v10, 0x3f68dda4, v27
	v_dual_fmac_f32 v37, 0xbf4178ce, v10 :: v_dual_add_f32 v44, v1, v44
	v_dual_add_f32 v46, v47, v16 :: v_dual_fmac_f32 v23, 0xbe903f40, v10
	s_delay_alu instid0(VALU_DEP_3) | instskip(SKIP_3) | instid1(VALU_DEP_3)
	v_add_f32_e32 v29, v1, v29
	v_dual_fmac_f32 v27, 0xbf68dda4, v10 :: v_dual_sub_f32 v10, v47, v16
	v_mul_f32_e32 v16, 0x3ed4b147, v5
	v_dual_add_f32 v3, v3, v17 :: v_dual_add_f32 v20, v1, v20
	v_dual_add_f32 v27, v1, v27 :: v_dual_add_f32 v22, v0, v22
	v_add_f32_e32 v35, v1, v35
	v_add_f32_e32 v32, v1, v32
	;; [unrolled: 1-line block ×5, first 2 shown]
	v_fmamk_f32 v23, v10, 0x3f68dda4, v16
	v_add_f32_e32 v17, v0, v25
	v_mul_f32_e32 v25, 0xbf68dda4, v21
	v_mul_f32_e32 v21, 0xbe903f40, v21
	v_fmac_f32_e32 v16, 0xbf68dda4, v10
	v_add_f32_e32 v20, v23, v20
	s_delay_alu instid0(VALU_DEP_4)
	v_fmamk_f32 v28, v19, 0x3ed4b147, v25
	v_fma_f32 v25, 0x3ed4b147, v19, -v25
	v_fmamk_f32 v39, v19, 0xbf75a155, v21
	v_fma_f32 v19, 0xbf75a155, v19, -v21
	;; [unrolled: 2-line block ×3, first 2 shown]
	v_add_f32_e32 v28, v0, v28
	v_add_f32_e32 v25, v0, v25
	v_add_f32_e32 v39, v0, v39
	s_delay_alu instid0(VALU_DEP_4) | instskip(SKIP_2) | instid1(VALU_DEP_2)
	v_dual_add_f32 v17, v21, v17 :: v_dual_add_f32 v18, v18, v22
	v_mul_f32_e32 v22, 0x3e903f40, v45
	v_dual_add_f32 v16, v16, v26 :: v_dual_mul_f32 v23, 0xbf27a4f4, v5
	v_fmamk_f32 v47, v46, 0xbf75a155, v22
	v_fma_f32 v22, 0xbf75a155, v46, -v22
	s_delay_alu instid0(VALU_DEP_3) | instskip(NEXT) | instid1(VALU_DEP_2)
	v_fmamk_f32 v26, v10, 0x3f4178ce, v23
	v_dual_add_f32 v22, v22, v30 :: v_dual_add_f32 v31, v0, v31
	v_dual_add_f32 v0, v0, v19 :: v_dual_mul_f32 v19, 0xbf4178ce, v45
	s_delay_alu instid0(VALU_DEP_3) | instskip(SKIP_1) | instid1(VALU_DEP_3)
	v_add_f32_e32 v26, v26, v29
	v_mul_f32_e32 v30, 0x3f0a6770, v45
	v_fmamk_f32 v21, v46, 0xbf27a4f4, v19
	v_fma_f32 v19, 0xbf27a4f4, v46, -v19
	s_delay_alu instid0(VALU_DEP_2) | instskip(NEXT) | instid1(VALU_DEP_2)
	v_dual_add_f32 v21, v21, v28 :: v_dual_mul_f32 v28, 0xbf75a155, v5
	v_add_f32_e32 v19, v19, v25
	v_fmac_f32_e32 v23, 0xbf4178ce, v10
	s_delay_alu instid0(VALU_DEP_3) | instskip(NEXT) | instid1(VALU_DEP_1)
	v_fmamk_f32 v25, v10, 0xbe903f40, v28
	v_dual_fmac_f32 v28, 0x3e903f40, v10 :: v_dual_add_f32 v25, v25, v35
	s_delay_alu instid0(VALU_DEP_1) | instskip(NEXT) | instid1(VALU_DEP_1)
	v_dual_add_f32 v28, v28, v32 :: v_dual_mul_f32 v29, 0x3f7d64f0, v45
	v_fmamk_f32 v35, v46, 0xbe11bafb, v29
	v_fma_f32 v29, 0xbe11bafb, v46, -v29
	s_delay_alu instid0(VALU_DEP_2) | instskip(NEXT) | instid1(VALU_DEP_2)
	v_dual_add_f32 v35, v35, v36 :: v_dual_fmamk_f32 v36, v46, 0x3f575c64, v30
	v_add_f32_e32 v29, v29, v34
	v_fma_f32 v30, 0x3f575c64, v46, -v30
	s_delay_alu instid0(VALU_DEP_3)
	v_add_f32_e32 v34, v36, v39
	v_sub_f32_e32 v36, v7, v12
	v_dual_add_f32 v7, v7, v12 :: v_dual_add_f32 v12, v4, v14
	v_dual_sub_f32 v4, v4, v14 :: v_dual_add_f32 v23, v23, v27
	v_add_f32_e32 v27, v47, v31
	v_dual_mul_f32 v31, 0xbe11bafb, v5 :: v_dual_add_f32 v0, v30, v0
	v_mul_f32_e32 v30, 0x3e903f40, v36
	v_mul_f32_e32 v39, 0x3ed4b147, v7
	s_delay_alu instid0(VALU_DEP_3) | instskip(SKIP_1) | instid1(VALU_DEP_2)
	v_fmamk_f32 v32, v10, 0xbf7d64f0, v31
	v_fmac_f32_e32 v31, 0x3f7d64f0, v10
	v_add_f32_e32 v32, v32, v38
	v_mul_f32_e32 v38, 0xbf7d64f0, v36
	v_mul_f32_e32 v5, 0x3f575c64, v5
	s_delay_alu instid0(VALU_DEP_4) | instskip(NEXT) | instid1(VALU_DEP_2)
	v_add_f32_e32 v31, v31, v37
	v_fmamk_f32 v37, v10, 0xbf0a6770, v5
	v_fmac_f32_e32 v5, 0x3f0a6770, v10
	v_mul_f32_e32 v10, 0xbe11bafb, v7
	s_delay_alu instid0(VALU_DEP_3) | instskip(NEXT) | instid1(VALU_DEP_3)
	v_dual_add_f32 v14, v37, v44 :: v_dual_fmamk_f32 v37, v12, 0xbe11bafb, v38
	v_add_f32_e32 v1, v5, v1
	s_delay_alu instid0(VALU_DEP_3) | instskip(NEXT) | instid1(VALU_DEP_3)
	v_fmamk_f32 v5, v4, 0x3f7d64f0, v10
	v_dual_fmac_f32 v10, 0xbf7d64f0, v4 :: v_dual_add_f32 v17, v37, v17
	v_fma_f32 v37, 0xbe11bafb, v12, -v38
	v_mul_f32_e32 v38, 0xbf75a155, v7
	s_delay_alu instid0(VALU_DEP_3) | instskip(SKIP_4) | instid1(VALU_DEP_4)
	v_add_f32_e32 v10, v10, v16
	v_mul_f32_e32 v16, 0x3f68dda4, v36
	v_dual_add_f32 v5, v5, v20 :: v_dual_fmamk_f32 v20, v12, 0xbf75a155, v30
	v_add_f32_e32 v18, v37, v18
	v_fma_f32 v30, 0xbf75a155, v12, -v30
	v_fmamk_f32 v37, v12, 0x3ed4b147, v16
	v_fma_f32 v16, 0x3ed4b147, v12, -v16
	s_delay_alu instid0(VALU_DEP_3) | instskip(SKIP_1) | instid1(VALU_DEP_3)
	v_dual_add_f32 v20, v20, v21 :: v_dual_add_f32 v19, v30, v19
	v_mul_f32_e32 v30, 0xbf0a6770, v36
	v_add_f32_e32 v16, v16, v22
	v_fmamk_f32 v21, v4, 0xbe903f40, v38
	v_mul_f32_e32 v36, 0xbf4178ce, v36
	s_delay_alu instid0(VALU_DEP_2) | instskip(SKIP_3) | instid1(VALU_DEP_2)
	v_dual_fmac_f32 v38, 0x3e903f40, v4 :: v_dual_add_f32 v21, v21, v26
	v_dual_add_f32 v26, v37, v27 :: v_dual_fmamk_f32 v27, v4, 0xbf68dda4, v39
	v_fmac_f32_e32 v39, 0x3f68dda4, v4
	v_mul_f32_e32 v37, 0x3f575c64, v7
	v_dual_mul_f32 v7, 0xbf27a4f4, v7 :: v_dual_add_f32 v22, v39, v28
	s_delay_alu instid0(VALU_DEP_2) | instskip(NEXT) | instid1(VALU_DEP_1)
	v_fmamk_f32 v28, v4, 0x3f0a6770, v37
	v_add_f32_e32 v28, v28, v32
	v_fmamk_f32 v32, v12, 0xbf27a4f4, v36
	s_delay_alu instid0(VALU_DEP_1) | instskip(SKIP_1) | instid1(VALU_DEP_1)
	v_add_f32_e32 v32, v32, v34
	v_fmamk_f32 v34, v4, 0x3f4178ce, v7
	v_dual_fmac_f32 v7, 0xbf4178ce, v4 :: v_dual_add_f32 v14, v34, v14
	v_fmac_f32_e32 v37, 0xbf0a6770, v4
	v_dual_sub_f32 v4, v33, v24 :: v_dual_add_f32 v25, v27, v25
	v_fmamk_f32 v27, v12, 0x3f575c64, v30
	v_fma_f32 v30, 0x3f575c64, v12, -v30
	v_fma_f32 v12, 0xbf27a4f4, v12, -v36
	s_delay_alu instid0(VALU_DEP_3) | instskip(SKIP_1) | instid1(VALU_DEP_4)
	v_add_f32_e32 v27, v27, v35
	v_add_f32_e32 v35, v33, v24
	v_dual_add_f32 v29, v30, v29 :: v_dual_add_f32 v30, v37, v31
	v_sub_f32_e32 v31, v8, v15
	v_add_f32_e32 v8, v8, v15
	v_dual_add_f32 v0, v12, v0 :: v_dual_add_f32 v23, v38, v23
	s_delay_alu instid0(VALU_DEP_2) | instskip(NEXT) | instid1(VALU_DEP_4)
	v_dual_mul_f32 v24, 0xbf27a4f4, v8 :: v_dual_add_f32 v1, v7, v1
	v_mul_f32_e32 v15, 0xbf4178ce, v31
	s_delay_alu instid0(VALU_DEP_2) | instskip(SKIP_1) | instid1(VALU_DEP_3)
	v_fmamk_f32 v7, v4, 0x3f4178ce, v24
	v_fmac_f32_e32 v24, 0xbf4178ce, v4
	v_fmamk_f32 v33, v35, 0xbf27a4f4, v15
	v_fma_f32 v15, 0xbf27a4f4, v35, -v15
	s_delay_alu instid0(VALU_DEP_3) | instskip(NEXT) | instid1(VALU_DEP_3)
	v_add_f32_e32 v10, v24, v10
	v_dual_add_f32 v12, v33, v17 :: v_dual_mul_f32 v17, 0x3f7d64f0, v31
	v_add_f32_e32 v5, v7, v5
	v_mul_f32_e32 v7, 0xbe11bafb, v8
	v_dual_add_f32 v15, v15, v18 :: v_dual_mul_f32 v18, 0xbf0a6770, v31
	s_delay_alu instid0(VALU_DEP_4) | instskip(SKIP_1) | instid1(VALU_DEP_4)
	v_fmamk_f32 v33, v35, 0xbe11bafb, v17
	v_fma_f32 v17, 0xbe11bafb, v35, -v17
	v_fmamk_f32 v24, v4, 0xbf7d64f0, v7
	v_fmac_f32_e32 v7, 0x3f7d64f0, v4
	s_delay_alu instid0(VALU_DEP_4) | instskip(NEXT) | instid1(VALU_DEP_3)
	v_dual_add_f32 v20, v33, v20 :: v_dual_fmamk_f32 v33, v35, 0x3f575c64, v18
	v_dual_add_f32 v21, v24, v21 :: v_dual_mul_f32 v24, 0x3f575c64, v8
	v_add_f32_e32 v17, v17, v19
	s_delay_alu instid0(VALU_DEP_4) | instskip(NEXT) | instid1(VALU_DEP_4)
	v_add_f32_e32 v19, v7, v23
	v_add_f32_e32 v23, v33, v26
	v_fma_f32 v18, 0x3f575c64, v35, -v18
	v_fmamk_f32 v26, v4, 0x3f0a6770, v24
	v_mul_f32_e32 v33, 0xbf75a155, v8
	v_mul_f32_e32 v8, 0x3ed4b147, v8
	v_fmac_f32_e32 v24, 0xbf0a6770, v4
	v_dual_add_f32 v16, v18, v16 :: v_dual_mul_f32 v7, 0xbe903f40, v31
	v_dual_add_f32 v25, v26, v25 :: v_dual_mul_f32 v26, 0x3f68dda4, v31
	v_fmamk_f32 v18, v4, 0x3e903f40, v33
	v_fmac_f32_e32 v33, 0xbe903f40, v4
	s_delay_alu instid0(VALU_DEP_4)
	v_fmamk_f32 v34, v35, 0xbf75a155, v7
	v_sub_f32_e32 v31, v11, v13
	v_add_f32_e32 v13, v11, v13
	v_fma_f32 v11, 0x3ed4b147, v35, -v26
	v_add_f32_e32 v22, v24, v22
	v_add_f32_e32 v24, v34, v27
	v_fma_f32 v7, 0xbf75a155, v35, -v7
	s_delay_alu instid0(VALU_DEP_4) | instskip(SKIP_3) | instid1(VALU_DEP_3)
	v_dual_add_f32 v30, v33, v30 :: v_dual_add_f32 v33, v11, v0
	v_dual_fmamk_f32 v27, v35, 0x3ed4b147, v26 :: v_dual_add_f32 v18, v18, v28
	v_fmamk_f32 v28, v4, 0xbf68dda4, v8
	v_fmac_f32_e32 v8, 0x3f68dda4, v4
	v_dual_sub_f32 v26, v6, v9 :: v_dual_add_f32 v27, v27, v32
	v_add_f32_e32 v32, v6, v9
	v_add_f32_e32 v29, v7, v29
	s_delay_alu instid0(VALU_DEP_4) | instskip(SKIP_3) | instid1(VALU_DEP_4)
	v_dual_mul_f32 v7, 0xbe903f40, v31 :: v_dual_add_f32 v34, v8, v1
	v_mul_f32_e32 v8, 0x3f0a6770, v31
	v_mul_f32_e32 v6, 0xbf75a155, v13
	v_mul_f32_e32 v9, 0x3f575c64, v13
	v_fmamk_f32 v4, v32, 0xbf75a155, v7
	v_dual_mul_f32 v35, 0xbf27a4f4, v13 :: v_dual_add_f32 v28, v28, v14
	s_delay_alu instid0(VALU_DEP_4) | instskip(SKIP_1) | instid1(VALU_DEP_4)
	v_fmamk_f32 v1, v26, 0x3e903f40, v6
	v_fmac_f32_e32 v6, 0xbe903f40, v26
	v_add_f32_e32 v0, v4, v12
	v_fma_f32 v4, 0xbf75a155, v32, -v7
	v_fmamk_f32 v7, v32, 0x3f575c64, v8
	v_fma_f32 v8, 0x3f575c64, v32, -v8
	v_add_f32_e32 v1, v1, v5
	s_delay_alu instid0(VALU_DEP_4) | instskip(NEXT) | instid1(VALU_DEP_4)
	v_dual_add_f32 v5, v6, v10 :: v_dual_add_f32 v4, v4, v15
	v_add_f32_e32 v6, v7, v20
	s_delay_alu instid0(VALU_DEP_4)
	v_add_f32_e32 v8, v8, v17
	v_mul_f32_e32 v17, 0x3ed4b147, v13
	v_mul_f32_e32 v13, 0xbe11bafb, v13
	v_fmamk_f32 v7, v26, 0xbf0a6770, v9
	v_fmac_f32_e32 v9, 0x3f0a6770, v26
	v_fmamk_f32 v12, v26, 0x3f4178ce, v35
	v_fmac_f32_e32 v35, 0xbf4178ce, v26
	v_fmamk_f32 v20, v26, 0x3f7d64f0, v13
	v_mul_f32_e32 v10, 0xbf4178ce, v31
	v_mul_f32_e32 v14, 0x3f68dda4, v31
	v_add_f32_e32 v9, v9, v19
	v_add_f32_e32 v7, v7, v21
	v_fmac_f32_e32 v13, 0xbf7d64f0, v26
	v_fmamk_f32 v11, v32, 0xbf27a4f4, v10
	v_fma_f32 v15, 0xbf27a4f4, v32, -v10
	s_delay_alu instid0(VALU_DEP_2) | instskip(NEXT) | instid1(VALU_DEP_2)
	v_dual_fmamk_f32 v19, v32, 0x3ed4b147, v14 :: v_dual_add_f32 v10, v11, v23
	v_dual_add_f32 v11, v12, v25 :: v_dual_add_f32 v12, v15, v16
	v_fmamk_f32 v15, v26, 0xbf68dda4, v17
	v_fma_f32 v16, 0x3ed4b147, v32, -v14
	s_delay_alu instid0(VALU_DEP_4) | instskip(SKIP_1) | instid1(VALU_DEP_2)
	v_dual_add_f32 v14, v19, v24 :: v_dual_mul_f32 v19, 0xbf7d64f0, v31
	v_fmac_f32_e32 v17, 0x3f68dda4, v26
	v_dual_add_f32 v15, v15, v18 :: v_dual_fmamk_f32 v18, v32, 0xbe11bafb, v19
	v_fma_f32 v21, 0xbe11bafb, v32, -v19
	v_add_f32_e32 v19, v20, v28
	s_delay_alu instid0(VALU_DEP_4) | instskip(NEXT) | instid1(VALU_DEP_4)
	v_dual_add_f32 v16, v16, v29 :: v_dual_add_f32 v17, v17, v30
	v_add_f32_e32 v18, v18, v27
	s_delay_alu instid0(VALU_DEP_4)
	v_add_f32_e32 v20, v21, v33
	v_add_f32_e32 v21, v13, v34
	;; [unrolled: 1-line block ×3, first 2 shown]
	ds_store_2addr_b64 v92, v[2:3], v[0:1] offset1:88
	ds_store_2addr_b64 v41, v[6:7], v[10:11] offset0:48 offset1:136
	ds_store_2addr_b64 v43, v[14:15], v[18:19] offset0:96 offset1:184
	;; [unrolled: 1-line block ×4, first 2 shown]
	ds_store_b64 v92, v[4:5] offset:7040
	global_wb scope:SCOPE_SE
	s_wait_dscnt 0x0
	s_barrier_signal -1
	s_barrier_wait -1
	global_inv scope:SCOPE_SE
	ds_load_2addr_b64 v[0:3], v92 offset1:88
	v_mad_co_u64_u32 v[20:21], null, s6, v64, 0
	s_wait_dscnt 0x0
	v_mul_f32_e32 v4, v86, v1
	v_mul_f32_e32 v28, v78, v3
	s_delay_alu instid0(VALU_DEP_2) | instskip(SKIP_1) | instid1(VALU_DEP_3)
	v_fmac_f32_e32 v4, v85, v0
	v_mul_f32_e32 v0, v86, v0
	v_fmac_f32_e32 v28, v77, v2
	v_mul_f32_e32 v2, v78, v2
	s_delay_alu instid0(VALU_DEP_4)
	v_cvt_f64_f32_e32 v[16:17], v4
	ds_load_2addr_b64 v[4:7], v43 offset0:96 offset1:228
	v_fma_f32 v18, v85, v1, -v0
	ds_load_2addr_b64 v[8:11], v42 offset0:60 offset1:148
	ds_load_2addr_b64 v[12:15], v41 offset0:48 offset1:136
	v_fma_f32 v2, v77, v3, -v2
	v_cvt_f64_f32_e32 v[28:29], v28
	v_cvt_f64_f32_e32 v[22:23], v18
	s_delay_alu instid0(VALU_DEP_3)
	v_cvt_f64_f32_e32 v[2:3], v2
	s_wait_dscnt 0x2
	v_mul_f32_e32 v19, v80, v7
	v_mul_f32_e32 v24, v80, v6
	s_wait_dscnt 0x1
	v_mul_f32_e32 v30, v70, v9
	s_wait_dscnt 0x0
	v_dual_mul_f32 v31, v70, v8 :: v_dual_mul_f32 v32, v76, v13
	v_fmac_f32_e32 v19, v79, v6
	v_mul_f32_e32 v33, v76, v12
	v_fmac_f32_e32 v30, v69, v8
	s_delay_alu instid0(VALU_DEP_4)
	v_fma_f32 v31, v69, v9, -v31
	v_fmac_f32_e32 v32, v75, v12
	v_mul_f32_e32 v34, v72, v11
	v_fma_f32 v33, v75, v13, -v33
	v_cvt_f64_f32_e32 v[8:9], v30
	v_cvt_f64_f32_e32 v[12:13], v31
	v_dual_mul_f32 v35, v72, v10 :: v_dual_mul_f32 v36, v74, v15
	v_mul_f32_e32 v37, v74, v14
	s_wait_alu 0xfffe
	v_mul_f64_e32 v[0:1], s[2:3], v[16:17]
	v_fma_f32 v16, v79, v7, -v24
	v_cvt_f64_f32_e32 v[24:25], v19
	v_dual_mul_f32 v41, v82, v4 :: v_dual_fmac_f32 v34, v71, v10
	v_fma_f32 v35, v71, v11, -v35
	s_delay_alu instid0(VALU_DEP_4)
	v_cvt_f64_f32_e32 v[26:27], v16
	ds_load_2addr_b64 v[16:19], v40 offset0:108 offset1:196
	v_mul_f64_e32 v[22:23], s[2:3], v[22:23]
	v_mul_f32_e32 v40, v82, v5
	v_fmac_f32_e32 v36, v73, v14
	v_fma_f32 v37, v73, v15, -v37
	v_fma_f32 v41, v81, v5, -v41
	v_cvt_f64_f32_e32 v[30:31], v32
	v_fmac_f32_e32 v40, v81, v4
	v_cvt_f64_f32_e32 v[32:33], v33
	v_cvt_f64_f32_e32 v[10:11], v34
	;; [unrolled: 1-line block ×5, first 2 shown]
	v_mad_co_u64_u32 v[6:7], null, s4, v91, 0
	v_mul_f64_e32 v[28:29], s[2:3], v[28:29]
	v_mul_f64_e32 v[2:3], s[2:3], v[2:3]
	s_wait_dscnt 0x0
	v_mul_f32_e32 v38, v68, v17
	v_mul_f32_e32 v42, v84, v19
	s_delay_alu instid0(VALU_DEP_2) | instskip(NEXT) | instid1(VALU_DEP_2)
	v_dual_mul_f32 v43, v84, v18 :: v_dual_fmac_f32 v38, v67, v16
	v_fmac_f32_e32 v42, v83, v18
	v_mul_f32_e32 v16, v68, v16
	s_delay_alu instid0(VALU_DEP_3)
	v_fma_f32 v43, v83, v19, -v43
	v_cvt_f64_f32_e32 v[18:19], v41
	v_cvt_f64_f32_e32 v[38:39], v38
	v_mul_f64_e32 v[12:13], s[2:3], v[12:13]
	v_fma_f32 v16, v67, v17, -v16
	v_mul_f64_e32 v[24:25], s[2:3], v[24:25]
	v_cvt_f32_f64_e32 v0, v[0:1]
	s_delay_alu instid0(VALU_DEP_3)
	v_cvt_f64_f32_e32 v[4:5], v16
	v_cvt_f64_f32_e32 v[16:17], v40
	;; [unrolled: 1-line block ×4, first 2 shown]
	v_mul_f64_e32 v[26:27], s[2:3], v[26:27]
	v_mad_co_u64_u32 v[44:45], null, s7, v64, v[21:22]
	v_mad_co_u64_u32 v[45:46], null, s5, v91, v[7:8]
	v_mul_f64_e32 v[8:9], s[2:3], v[8:9]
	v_mul_f64_e32 v[30:31], s[2:3], v[30:31]
	;; [unrolled: 1-line block ×4, first 2 shown]
	v_mov_b32_e32 v21, v44
	v_mul_f64_e32 v[14:15], s[2:3], v[14:15]
	v_mul_f64_e32 v[34:35], s[2:3], v[34:35]
	;; [unrolled: 1-line block ×3, first 2 shown]
	v_mov_b32_e32 v7, v45
	v_lshlrev_b64_e32 v[20:21], 3, v[20:21]
	v_cvt_f32_f64_e32 v1, v[22:23]
	s_delay_alu instid0(VALU_DEP_3) | instskip(NEXT) | instid1(VALU_DEP_3)
	v_lshlrev_b64_e32 v[6:7], 3, v[6:7]
	v_add_co_u32 v20, s0, s8, v20
	s_wait_alu 0xf1ff
	s_delay_alu instid0(VALU_DEP_4) | instskip(NEXT) | instid1(VALU_DEP_2)
	v_add_co_ci_u32_e64 v21, s0, s9, v21, s0
	v_add_co_u32 v6, s0, v20, v6
	v_mul_f64_e32 v[18:19], s[2:3], v[18:19]
	v_mul_f64_e32 v[38:39], s[2:3], v[38:39]
	s_wait_alu 0xf1ff
	v_add_co_ci_u32_e64 v7, s0, v21, v7, s0
	v_cvt_f32_f64_e32 v20, v[24:25]
	s_mul_u64 s[0:1], s[4:5], 0x1e4
	v_cvt_f32_f64_e32 v24, v[28:29]
	v_mul_f64_e32 v[4:5], s[2:3], v[4:5]
	v_mul_f64_e32 v[16:17], s[2:3], v[16:17]
	;; [unrolled: 1-line block ×4, first 2 shown]
	v_cvt_f32_f64_e32 v21, v[26:27]
	v_cvt_f32_f64_e32 v25, v[2:3]
	s_wait_alu 0xfffe
	s_lshl_b64 s[6:7], s[0:1], 3
	v_cvt_f32_f64_e32 v3, v[12:13]
	s_wait_alu 0xfffe
	v_add_co_u32 v22, s0, v6, s6
	s_wait_alu 0xf1ff
	v_add_co_ci_u32_e64 v23, s0, s7, v7, s0
	v_cvt_f32_f64_e32 v2, v[8:9]
	s_movk_i32 s0, 0xfe74
	s_mov_b32 s1, -1
	v_cvt_f32_f64_e32 v12, v[30:31]
	s_wait_alu 0xfffe
	s_mul_u64 s[0:1], s[4:5], s[0:1]
	v_cvt_f32_f64_e32 v13, v[32:33]
	s_wait_alu 0xfffe
	s_lshl_b64 s[4:5], s[0:1], 3
	v_cvt_f32_f64_e32 v10, v[10:11]
	s_wait_alu 0xfffe
	v_add_co_u32 v8, s0, v22, s4
	s_wait_alu 0xf1ff
	v_add_co_ci_u32_e64 v9, s0, s5, v23, s0
	v_cvt_f32_f64_e32 v11, v[14:15]
	v_cvt_f32_f64_e32 v14, v[34:35]
	;; [unrolled: 1-line block ×3, first 2 shown]
	global_store_b64 v[6:7], v[0:1], off
	v_cvt_f32_f64_e32 v26, v[38:39]
	v_cvt_f32_f64_e32 v27, v[4:5]
	;; [unrolled: 1-line block ×3, first 2 shown]
	v_add_co_u32 v18, s0, v8, s6
	v_cvt_f32_f64_e32 v4, v[16:17]
	s_wait_alu 0xf1ff
	v_add_co_ci_u32_e64 v19, s0, s7, v9, s0
	v_cvt_f32_f64_e32 v16, v[40:41]
	v_cvt_f32_f64_e32 v17, v[42:43]
	v_add_co_u32 v28, s0, v18, s4
	s_wait_alu 0xf1ff
	v_add_co_ci_u32_e64 v29, s0, s5, v19, s0
	global_store_b64 v[22:23], v[20:21], off
	v_add_co_u32 v6, s0, v28, s6
	s_wait_alu 0xf1ff
	v_add_co_ci_u32_e64 v7, s0, s7, v29, s0
	global_store_b64 v[8:9], v[24:25], off
	;; [unrolled: 4-line block ×4, first 2 shown]
	v_add_co_u32 v2, s0, v8, s4
	s_wait_alu 0xf1ff
	v_add_co_ci_u32_e64 v3, s0, s5, v9, s0
	s_delay_alu instid0(VALU_DEP_2) | instskip(SKIP_1) | instid1(VALU_DEP_2)
	v_add_co_u32 v0, s0, v2, s6
	s_wait_alu 0xf1ff
	v_add_co_ci_u32_e64 v1, s0, s7, v3, s0
	global_store_b64 v[6:7], v[10:11], off
	global_store_b64 v[20:21], v[14:15], off
	;; [unrolled: 1-line block ×5, first 2 shown]
	s_and_b32 exec_lo, exec_lo, vcc_lo
	s_cbranch_execz .LBB0_31
; %bb.30:
	s_clause 0x1
	global_load_b64 v[2:3], v[65:66], off offset:3520
	global_load_b64 v[4:5], v[65:66], off offset:7392
	ds_load_b64 v[6:7], v92 offset:3520
	ds_load_b64 v[8:9], v92 offset:7392
	v_add_co_u32 v0, vcc_lo, v0, s4
	s_wait_alu 0xfffd
	v_add_co_ci_u32_e32 v1, vcc_lo, s5, v1, vcc_lo
	s_wait_loadcnt_dscnt 0x0
	v_dual_mul_f32 v10, v7, v3 :: v_dual_mul_f32 v11, v9, v5
	v_mul_f32_e32 v3, v6, v3
	s_delay_alu instid0(VALU_DEP_2) | instskip(NEXT) | instid1(VALU_DEP_3)
	v_dual_mul_f32 v5, v8, v5 :: v_dual_fmac_f32 v10, v6, v2
	v_fmac_f32_e32 v11, v8, v4
	s_delay_alu instid0(VALU_DEP_3) | instskip(NEXT) | instid1(VALU_DEP_3)
	v_fma_f32 v6, v2, v7, -v3
	v_fma_f32 v8, v4, v9, -v5
	s_delay_alu instid0(VALU_DEP_4) | instskip(NEXT) | instid1(VALU_DEP_3)
	v_cvt_f64_f32_e32 v[2:3], v10
	v_cvt_f64_f32_e32 v[4:5], v6
	;; [unrolled: 1-line block ×3, first 2 shown]
	s_delay_alu instid0(VALU_DEP_4) | instskip(NEXT) | instid1(VALU_DEP_4)
	v_cvt_f64_f32_e32 v[8:9], v8
	v_mul_f64_e32 v[2:3], s[2:3], v[2:3]
	s_delay_alu instid0(VALU_DEP_4) | instskip(NEXT) | instid1(VALU_DEP_4)
	v_mul_f64_e32 v[4:5], s[2:3], v[4:5]
	v_mul_f64_e32 v[6:7], s[2:3], v[6:7]
	s_delay_alu instid0(VALU_DEP_4) | instskip(NEXT) | instid1(VALU_DEP_4)
	v_mul_f64_e32 v[8:9], s[2:3], v[8:9]
	v_cvt_f32_f64_e32 v2, v[2:3]
	s_delay_alu instid0(VALU_DEP_4) | instskip(NEXT) | instid1(VALU_DEP_4)
	v_cvt_f32_f64_e32 v3, v[4:5]
	v_cvt_f32_f64_e32 v4, v[6:7]
	s_delay_alu instid0(VALU_DEP_4)
	v_cvt_f32_f64_e32 v5, v[8:9]
	v_add_co_u32 v6, vcc_lo, v0, s6
	s_wait_alu 0xfffd
	v_add_co_ci_u32_e32 v7, vcc_lo, s7, v1, vcc_lo
	global_store_b64 v[0:1], v[2:3], off
	global_store_b64 v[6:7], v[4:5], off
.LBB0_31:
	s_nop 0
	s_sendmsg sendmsg(MSG_DEALLOC_VGPRS)
	s_endpgm
	.section	.rodata,"a",@progbits
	.p2align	6, 0x0
	.amdhsa_kernel bluestein_single_back_len968_dim1_sp_op_CI_CI
		.amdhsa_group_segment_fixed_size 15488
		.amdhsa_private_segment_fixed_size 0
		.amdhsa_kernarg_size 104
		.amdhsa_user_sgpr_count 2
		.amdhsa_user_sgpr_dispatch_ptr 0
		.amdhsa_user_sgpr_queue_ptr 0
		.amdhsa_user_sgpr_kernarg_segment_ptr 1
		.amdhsa_user_sgpr_dispatch_id 0
		.amdhsa_user_sgpr_private_segment_size 0
		.amdhsa_wavefront_size32 1
		.amdhsa_uses_dynamic_stack 0
		.amdhsa_enable_private_segment 0
		.amdhsa_system_sgpr_workgroup_id_x 1
		.amdhsa_system_sgpr_workgroup_id_y 0
		.amdhsa_system_sgpr_workgroup_id_z 0
		.amdhsa_system_sgpr_workgroup_info 0
		.amdhsa_system_vgpr_workitem_id 0
		.amdhsa_next_free_vgpr 216
		.amdhsa_next_free_sgpr 18
		.amdhsa_reserve_vcc 1
		.amdhsa_float_round_mode_32 0
		.amdhsa_float_round_mode_16_64 0
		.amdhsa_float_denorm_mode_32 3
		.amdhsa_float_denorm_mode_16_64 3
		.amdhsa_fp16_overflow 0
		.amdhsa_workgroup_processor_mode 1
		.amdhsa_memory_ordered 1
		.amdhsa_forward_progress 0
		.amdhsa_round_robin_scheduling 0
		.amdhsa_exception_fp_ieee_invalid_op 0
		.amdhsa_exception_fp_denorm_src 0
		.amdhsa_exception_fp_ieee_div_zero 0
		.amdhsa_exception_fp_ieee_overflow 0
		.amdhsa_exception_fp_ieee_underflow 0
		.amdhsa_exception_fp_ieee_inexact 0
		.amdhsa_exception_int_div_zero 0
	.end_amdhsa_kernel
	.text
.Lfunc_end0:
	.size	bluestein_single_back_len968_dim1_sp_op_CI_CI, .Lfunc_end0-bluestein_single_back_len968_dim1_sp_op_CI_CI
                                        ; -- End function
	.section	.AMDGPU.csdata,"",@progbits
; Kernel info:
; codeLenInByte = 16092
; NumSgprs: 20
; NumVgprs: 216
; ScratchSize: 0
; MemoryBound: 0
; FloatMode: 240
; IeeeMode: 1
; LDSByteSize: 15488 bytes/workgroup (compile time only)
; SGPRBlocks: 2
; VGPRBlocks: 26
; NumSGPRsForWavesPerEU: 20
; NumVGPRsForWavesPerEU: 216
; Occupancy: 7
; WaveLimiterHint : 1
; COMPUTE_PGM_RSRC2:SCRATCH_EN: 0
; COMPUTE_PGM_RSRC2:USER_SGPR: 2
; COMPUTE_PGM_RSRC2:TRAP_HANDLER: 0
; COMPUTE_PGM_RSRC2:TGID_X_EN: 1
; COMPUTE_PGM_RSRC2:TGID_Y_EN: 0
; COMPUTE_PGM_RSRC2:TGID_Z_EN: 0
; COMPUTE_PGM_RSRC2:TIDIG_COMP_CNT: 0
	.text
	.p2alignl 7, 3214868480
	.fill 96, 4, 3214868480
	.type	__hip_cuid_a42106404864615e,@object ; @__hip_cuid_a42106404864615e
	.section	.bss,"aw",@nobits
	.globl	__hip_cuid_a42106404864615e
__hip_cuid_a42106404864615e:
	.byte	0                               ; 0x0
	.size	__hip_cuid_a42106404864615e, 1

	.ident	"AMD clang version 19.0.0git (https://github.com/RadeonOpenCompute/llvm-project roc-6.4.0 25133 c7fe45cf4b819c5991fe208aaa96edf142730f1d)"
	.section	".note.GNU-stack","",@progbits
	.addrsig
	.addrsig_sym __hip_cuid_a42106404864615e
	.amdgpu_metadata
---
amdhsa.kernels:
  - .args:
      - .actual_access:  read_only
        .address_space:  global
        .offset:         0
        .size:           8
        .value_kind:     global_buffer
      - .actual_access:  read_only
        .address_space:  global
        .offset:         8
        .size:           8
        .value_kind:     global_buffer
      - .actual_access:  read_only
        .address_space:  global
        .offset:         16
        .size:           8
        .value_kind:     global_buffer
      - .actual_access:  read_only
        .address_space:  global
        .offset:         24
        .size:           8
        .value_kind:     global_buffer
      - .actual_access:  read_only
        .address_space:  global
        .offset:         32
        .size:           8
        .value_kind:     global_buffer
      - .offset:         40
        .size:           8
        .value_kind:     by_value
      - .address_space:  global
        .offset:         48
        .size:           8
        .value_kind:     global_buffer
      - .address_space:  global
        .offset:         56
        .size:           8
        .value_kind:     global_buffer
      - .address_space:  global
        .offset:         64
        .size:           8
        .value_kind:     global_buffer
      - .address_space:  global
        .offset:         72
        .size:           8
        .value_kind:     global_buffer
      - .offset:         80
        .size:           4
        .value_kind:     by_value
      - .address_space:  global
        .offset:         88
        .size:           8
        .value_kind:     global_buffer
      - .address_space:  global
        .offset:         96
        .size:           8
        .value_kind:     global_buffer
    .group_segment_fixed_size: 15488
    .kernarg_segment_align: 8
    .kernarg_segment_size: 104
    .language:       OpenCL C
    .language_version:
      - 2
      - 0
    .max_flat_workgroup_size: 176
    .name:           bluestein_single_back_len968_dim1_sp_op_CI_CI
    .private_segment_fixed_size: 0
    .sgpr_count:     20
    .sgpr_spill_count: 0
    .symbol:         bluestein_single_back_len968_dim1_sp_op_CI_CI.kd
    .uniform_work_group_size: 1
    .uses_dynamic_stack: false
    .vgpr_count:     216
    .vgpr_spill_count: 0
    .wavefront_size: 32
    .workgroup_processor_mode: 1
amdhsa.target:   amdgcn-amd-amdhsa--gfx1201
amdhsa.version:
  - 1
  - 2
...

	.end_amdgpu_metadata
